;; amdgpu-corpus repo=ROCm/rocFFT kind=compiled arch=gfx1030 opt=O3
	.text
	.amdgcn_target "amdgcn-amd-amdhsa--gfx1030"
	.amdhsa_code_object_version 6
	.protected	fft_rtc_fwd_len1734_factors_17_17_6_wgs_102_tpt_102_halfLds_sp_ip_CI_sbrr_dirReg ; -- Begin function fft_rtc_fwd_len1734_factors_17_17_6_wgs_102_tpt_102_halfLds_sp_ip_CI_sbrr_dirReg
	.globl	fft_rtc_fwd_len1734_factors_17_17_6_wgs_102_tpt_102_halfLds_sp_ip_CI_sbrr_dirReg
	.p2align	8
	.type	fft_rtc_fwd_len1734_factors_17_17_6_wgs_102_tpt_102_halfLds_sp_ip_CI_sbrr_dirReg,@function
fft_rtc_fwd_len1734_factors_17_17_6_wgs_102_tpt_102_halfLds_sp_ip_CI_sbrr_dirReg: ; @fft_rtc_fwd_len1734_factors_17_17_6_wgs_102_tpt_102_halfLds_sp_ip_CI_sbrr_dirReg
; %bb.0:
	s_clause 0x2
	s_load_dwordx2 s[14:15], s[4:5], 0x18
	s_load_dwordx4 s[8:11], s[4:5], 0x0
	s_load_dwordx2 s[12:13], s[4:5], 0x50
	v_mul_u32_u24_e32 v1, 0x283, v0
	v_mov_b32_e32 v3, 0
	v_add_nc_u32_sdwa v5, s6, v1 dst_sel:DWORD dst_unused:UNUSED_PAD src0_sel:DWORD src1_sel:WORD_1
	v_mov_b32_e32 v1, 0
	v_mov_b32_e32 v6, v3
	v_mov_b32_e32 v2, 0
	s_waitcnt lgkmcnt(0)
	s_load_dwordx2 s[2:3], s[14:15], 0x0
	v_cmp_lt_u64_e64 s0, s[10:11], 2
	s_and_b32 vcc_lo, exec_lo, s0
	s_cbranch_vccnz .LBB0_8
; %bb.1:
	s_load_dwordx2 s[0:1], s[4:5], 0x10
	v_mov_b32_e32 v1, 0
	s_add_u32 s6, s14, 8
	v_mov_b32_e32 v2, 0
	s_addc_u32 s7, s15, 0
	s_mov_b64 s[18:19], 1
	s_waitcnt lgkmcnt(0)
	s_add_u32 s16, s0, 8
	s_addc_u32 s17, s1, 0
.LBB0_2:                                ; =>This Inner Loop Header: Depth=1
	s_load_dwordx2 s[20:21], s[16:17], 0x0
                                        ; implicit-def: $vgpr7_vgpr8
	s_mov_b32 s0, exec_lo
	s_waitcnt lgkmcnt(0)
	v_or_b32_e32 v4, s21, v6
	v_cmpx_ne_u64_e32 0, v[3:4]
	s_xor_b32 s1, exec_lo, s0
	s_cbranch_execz .LBB0_4
; %bb.3:                                ;   in Loop: Header=BB0_2 Depth=1
	v_cvt_f32_u32_e32 v4, s20
	v_cvt_f32_u32_e32 v7, s21
	s_sub_u32 s0, 0, s20
	s_subb_u32 s22, 0, s21
	v_fmac_f32_e32 v4, 0x4f800000, v7
	v_rcp_f32_e32 v4, v4
	v_mul_f32_e32 v4, 0x5f7ffffc, v4
	v_mul_f32_e32 v7, 0x2f800000, v4
	v_trunc_f32_e32 v7, v7
	v_fmac_f32_e32 v4, 0xcf800000, v7
	v_cvt_u32_f32_e32 v7, v7
	v_cvt_u32_f32_e32 v4, v4
	v_mul_lo_u32 v8, s0, v7
	v_mul_hi_u32 v9, s0, v4
	v_mul_lo_u32 v10, s22, v4
	v_add_nc_u32_e32 v8, v9, v8
	v_mul_lo_u32 v9, s0, v4
	v_add_nc_u32_e32 v8, v8, v10
	v_mul_hi_u32 v10, v4, v9
	v_mul_lo_u32 v11, v4, v8
	v_mul_hi_u32 v12, v4, v8
	v_mul_hi_u32 v13, v7, v9
	v_mul_lo_u32 v9, v7, v9
	v_mul_hi_u32 v14, v7, v8
	v_mul_lo_u32 v8, v7, v8
	v_add_co_u32 v10, vcc_lo, v10, v11
	v_add_co_ci_u32_e32 v11, vcc_lo, 0, v12, vcc_lo
	v_add_co_u32 v9, vcc_lo, v10, v9
	v_add_co_ci_u32_e32 v9, vcc_lo, v11, v13, vcc_lo
	v_add_co_ci_u32_e32 v10, vcc_lo, 0, v14, vcc_lo
	v_add_co_u32 v8, vcc_lo, v9, v8
	v_add_co_ci_u32_e32 v9, vcc_lo, 0, v10, vcc_lo
	v_add_co_u32 v4, vcc_lo, v4, v8
	v_add_co_ci_u32_e32 v7, vcc_lo, v7, v9, vcc_lo
	v_mul_hi_u32 v8, s0, v4
	v_mul_lo_u32 v10, s22, v4
	v_mul_lo_u32 v9, s0, v7
	v_add_nc_u32_e32 v8, v8, v9
	v_mul_lo_u32 v9, s0, v4
	v_add_nc_u32_e32 v8, v8, v10
	v_mul_hi_u32 v10, v4, v9
	v_mul_lo_u32 v11, v4, v8
	v_mul_hi_u32 v12, v4, v8
	v_mul_hi_u32 v13, v7, v9
	v_mul_lo_u32 v9, v7, v9
	v_mul_hi_u32 v14, v7, v8
	v_mul_lo_u32 v8, v7, v8
	v_add_co_u32 v10, vcc_lo, v10, v11
	v_add_co_ci_u32_e32 v11, vcc_lo, 0, v12, vcc_lo
	v_add_co_u32 v9, vcc_lo, v10, v9
	v_add_co_ci_u32_e32 v9, vcc_lo, v11, v13, vcc_lo
	v_add_co_ci_u32_e32 v10, vcc_lo, 0, v14, vcc_lo
	v_add_co_u32 v8, vcc_lo, v9, v8
	v_add_co_ci_u32_e32 v9, vcc_lo, 0, v10, vcc_lo
	v_add_co_u32 v4, vcc_lo, v4, v8
	v_add_co_ci_u32_e32 v11, vcc_lo, v7, v9, vcc_lo
	v_mul_hi_u32 v13, v5, v4
	v_mad_u64_u32 v[9:10], null, v6, v4, 0
	v_mad_u64_u32 v[7:8], null, v5, v11, 0
	;; [unrolled: 1-line block ×3, first 2 shown]
	v_add_co_u32 v4, vcc_lo, v13, v7
	v_add_co_ci_u32_e32 v7, vcc_lo, 0, v8, vcc_lo
	v_add_co_u32 v4, vcc_lo, v4, v9
	v_add_co_ci_u32_e32 v4, vcc_lo, v7, v10, vcc_lo
	v_add_co_ci_u32_e32 v7, vcc_lo, 0, v12, vcc_lo
	v_add_co_u32 v4, vcc_lo, v4, v11
	v_add_co_ci_u32_e32 v9, vcc_lo, 0, v7, vcc_lo
	v_mul_lo_u32 v10, s21, v4
	v_mad_u64_u32 v[7:8], null, s20, v4, 0
	v_mul_lo_u32 v11, s20, v9
	v_sub_co_u32 v7, vcc_lo, v5, v7
	v_add3_u32 v8, v8, v11, v10
	v_sub_nc_u32_e32 v10, v6, v8
	v_subrev_co_ci_u32_e64 v10, s0, s21, v10, vcc_lo
	v_add_co_u32 v11, s0, v4, 2
	v_add_co_ci_u32_e64 v12, s0, 0, v9, s0
	v_sub_co_u32 v13, s0, v7, s20
	v_sub_co_ci_u32_e32 v8, vcc_lo, v6, v8, vcc_lo
	v_subrev_co_ci_u32_e64 v10, s0, 0, v10, s0
	v_cmp_le_u32_e32 vcc_lo, s20, v13
	v_cmp_eq_u32_e64 s0, s21, v8
	v_cndmask_b32_e64 v13, 0, -1, vcc_lo
	v_cmp_le_u32_e32 vcc_lo, s21, v10
	v_cndmask_b32_e64 v14, 0, -1, vcc_lo
	v_cmp_le_u32_e32 vcc_lo, s20, v7
	;; [unrolled: 2-line block ×3, first 2 shown]
	v_cndmask_b32_e64 v15, 0, -1, vcc_lo
	v_cmp_eq_u32_e32 vcc_lo, s21, v10
	v_cndmask_b32_e64 v7, v15, v7, s0
	v_cndmask_b32_e32 v10, v14, v13, vcc_lo
	v_add_co_u32 v13, vcc_lo, v4, 1
	v_add_co_ci_u32_e32 v14, vcc_lo, 0, v9, vcc_lo
	v_cmp_ne_u32_e32 vcc_lo, 0, v10
	v_cndmask_b32_e32 v8, v14, v12, vcc_lo
	v_cndmask_b32_e32 v10, v13, v11, vcc_lo
	v_cmp_ne_u32_e32 vcc_lo, 0, v7
	v_cndmask_b32_e32 v8, v9, v8, vcc_lo
	v_cndmask_b32_e32 v7, v4, v10, vcc_lo
.LBB0_4:                                ;   in Loop: Header=BB0_2 Depth=1
	s_andn2_saveexec_b32 s0, s1
	s_cbranch_execz .LBB0_6
; %bb.5:                                ;   in Loop: Header=BB0_2 Depth=1
	v_cvt_f32_u32_e32 v4, s20
	s_sub_i32 s1, 0, s20
	v_rcp_iflag_f32_e32 v4, v4
	v_mul_f32_e32 v4, 0x4f7ffffe, v4
	v_cvt_u32_f32_e32 v4, v4
	v_mul_lo_u32 v7, s1, v4
	v_mul_hi_u32 v7, v4, v7
	v_add_nc_u32_e32 v4, v4, v7
	v_mul_hi_u32 v4, v5, v4
	v_mul_lo_u32 v7, v4, s20
	v_add_nc_u32_e32 v8, 1, v4
	v_sub_nc_u32_e32 v7, v5, v7
	v_subrev_nc_u32_e32 v9, s20, v7
	v_cmp_le_u32_e32 vcc_lo, s20, v7
	v_cndmask_b32_e32 v7, v7, v9, vcc_lo
	v_cndmask_b32_e32 v4, v4, v8, vcc_lo
	v_cmp_le_u32_e32 vcc_lo, s20, v7
	v_add_nc_u32_e32 v8, 1, v4
	v_cndmask_b32_e32 v7, v4, v8, vcc_lo
	v_mov_b32_e32 v8, v3
.LBB0_6:                                ;   in Loop: Header=BB0_2 Depth=1
	s_or_b32 exec_lo, exec_lo, s0
	s_load_dwordx2 s[0:1], s[6:7], 0x0
	v_mul_lo_u32 v4, v8, s20
	v_mul_lo_u32 v11, v7, s21
	v_mad_u64_u32 v[9:10], null, v7, s20, 0
	s_add_u32 s18, s18, 1
	s_addc_u32 s19, s19, 0
	s_add_u32 s6, s6, 8
	s_addc_u32 s7, s7, 0
	;; [unrolled: 2-line block ×3, first 2 shown]
	v_add3_u32 v4, v10, v11, v4
	v_sub_co_u32 v5, vcc_lo, v5, v9
	v_sub_co_ci_u32_e32 v4, vcc_lo, v6, v4, vcc_lo
	s_waitcnt lgkmcnt(0)
	v_mul_lo_u32 v6, s1, v5
	v_mul_lo_u32 v4, s0, v4
	v_mad_u64_u32 v[1:2], null, s0, v5, v[1:2]
	v_cmp_ge_u64_e64 s0, s[18:19], s[10:11]
	s_and_b32 vcc_lo, exec_lo, s0
	v_add3_u32 v2, v6, v2, v4
	s_cbranch_vccnz .LBB0_9
; %bb.7:                                ;   in Loop: Header=BB0_2 Depth=1
	v_mov_b32_e32 v5, v7
	v_mov_b32_e32 v6, v8
	s_branch .LBB0_2
.LBB0_8:
	v_mov_b32_e32 v8, v6
	v_mov_b32_e32 v7, v5
.LBB0_9:
	s_lshl_b64 s[0:1], s[10:11], 3
	v_mul_hi_u32 v3, 0x2828283, v0
	s_add_u32 s0, s14, s0
	s_addc_u32 s1, s15, s1
                                        ; implicit-def: $vgpr39
                                        ; implicit-def: $vgpr37
	s_load_dwordx2 s[0:1], s[0:1], 0x0
	s_load_dwordx2 s[4:5], s[4:5], 0x20
	v_mul_u32_u24_e32 v3, 0x66, v3
	v_sub_nc_u32_e32 v36, v0, v3
	v_add_nc_u32_e32 v38, 0x66, v36
	s_waitcnt lgkmcnt(0)
	v_mul_lo_u32 v4, s0, v8
	v_mul_lo_u32 v5, s1, v7
	v_mad_u64_u32 v[1:2], null, s0, v7, v[1:2]
	v_cmp_gt_u64_e32 vcc_lo, s[4:5], v[7:8]
	v_cmp_le_u64_e64 s0, s[4:5], v[7:8]
                                        ; implicit-def: $sgpr4_sgpr5
	v_add3_u32 v2, v5, v2, v4
	s_and_saveexec_b32 s1, s0
	s_xor_b32 s0, exec_lo, s1
; %bb.10:
	v_add_nc_u32_e32 v39, 0x66, v36
	v_add_nc_u32_e32 v37, 0xcc, v36
	s_mov_b64 s[4:5], 0
; %bb.11:
	s_or_saveexec_b32 s1, s0
	v_lshlrev_b64 v[20:21], 3, v[1:2]
	v_mov_b32_e32 v17, s5
	v_mov_b32_e32 v16, s4
                                        ; implicit-def: $vgpr35
                                        ; implicit-def: $vgpr33
                                        ; implicit-def: $vgpr23
                                        ; implicit-def: $vgpr19
                                        ; implicit-def: $vgpr13
                                        ; implicit-def: $vgpr9
                                        ; implicit-def: $vgpr5
                                        ; implicit-def: $vgpr1
                                        ; implicit-def: $vgpr25
                                        ; implicit-def: $vgpr27
                                        ; implicit-def: $vgpr29
                                        ; implicit-def: $vgpr31
                                        ; implicit-def: $vgpr15
                                        ; implicit-def: $vgpr11
                                        ; implicit-def: $vgpr7
                                        ; implicit-def: $vgpr3
	s_xor_b32 exec_lo, exec_lo, s1
	s_cbranch_execz .LBB0_13
; %bb.12:
	v_add_nc_u32_e32 v37, 0xcc, v36
	v_mad_u64_u32 v[0:1], null, s2, v36, 0
	v_mad_u64_u32 v[2:3], null, s2, v38, 0
	;; [unrolled: 1-line block ×3, first 2 shown]
	v_add_nc_u32_e32 v10, 0x132, v36
	v_add_nc_u32_e32 v14, 0x198, v36
	;; [unrolled: 1-line block ×3, first 2 shown]
	v_add_co_u32 v45, s0, s12, v20
	v_mad_u64_u32 v[6:7], null, s3, v36, v[1:2]
	v_mad_u64_u32 v[7:8], null, s3, v38, v[3:4]
	;; [unrolled: 1-line block ×3, first 2 shown]
	v_mov_b32_e32 v3, v5
	v_mad_u64_u32 v[12:13], null, s2, v15, 0
	v_mov_b32_e32 v1, v6
	v_add_co_ci_u32_e64 v46, s0, s13, v21, s0
	v_mad_u64_u32 v[5:6], null, s3, v37, v[3:4]
	v_mov_b32_e32 v6, v9
	v_mov_b32_e32 v3, v7
	v_lshlrev_b64 v[0:1], 3, v[0:1]
	v_add_nc_u32_e32 v24, 0x2ca, v36
	v_add_nc_u32_e32 v28, 0x3fc, v36
	v_mad_u64_u32 v[6:7], null, s3, v10, v[6:7]
	v_mad_u64_u32 v[10:11], null, s2, v14, 0
	v_lshlrev_b64 v[2:3], 3, v[2:3]
	v_add_co_u32 v0, s0, v45, v0
	v_lshlrev_b64 v[4:5], 3, v[4:5]
	v_mov_b32_e32 v9, v6
	v_add_co_ci_u32_e64 v1, s0, v46, v1, s0
	v_add_co_u32 v2, s0, v45, v2
	v_lshlrev_b64 v[8:9], 3, v[8:9]
	v_mov_b32_e32 v6, v11
	v_mov_b32_e32 v7, v13
	v_add_co_ci_u32_e64 v3, s0, v46, v3, s0
	v_add_co_u32 v4, s0, v45, v4
	v_add_co_ci_u32_e64 v5, s0, v46, v5, s0
	v_mad_u64_u32 v[13:14], null, s3, v14, v[6:7]
	v_mad_u64_u32 v[6:7], null, s3, v15, v[7:8]
	v_add_co_u32 v7, s0, v45, v8
	v_add_co_ci_u32_e64 v8, s0, v46, v9, s0
	v_add_nc_u32_e32 v9, 0x264, v36
	v_mov_b32_e32 v11, v13
	v_mov_b32_e32 v13, v6
	s_clause 0x3
	global_load_dwordx2 v[16:17], v[0:1], off
	global_load_dwordx2 v[34:35], v[2:3], off
	;; [unrolled: 1-line block ×4, first 2 shown]
	v_mad_u64_u32 v[18:19], null, s2, v24, 0
	v_mad_u64_u32 v[14:15], null, s2, v9, 0
	v_lshlrev_b64 v[3:4], 3, v[12:13]
	v_add_nc_u32_e32 v12, 0x330, v36
	v_lshlrev_b64 v[0:1], 3, v[10:11]
	v_add_nc_u32_e32 v39, 0x52e, v36
	v_mov_b32_e32 v5, v19
	v_add_nc_u32_e32 v42, 0x594, v36
	v_mov_b32_e32 v2, v15
	v_mad_u64_u32 v[10:11], null, s2, v12, 0
	v_add_co_u32 v0, s0, v45, v0
	v_mad_u64_u32 v[6:7], null, s3, v9, v[2:3]
	v_add_co_ci_u32_e64 v1, s0, v46, v1, s0
	v_add_nc_u32_e32 v9, 0x396, v36
	v_add_co_u32 v2, s0, v45, v3
	v_add_co_ci_u32_e64 v3, s0, v46, v4, s0
	v_mad_u64_u32 v[7:8], null, s3, v24, v[5:6]
	v_mov_b32_e32 v15, v6
	v_mov_b32_e32 v4, v11
	v_mad_u64_u32 v[24:25], null, s2, v28, 0
	v_add_nc_u32_e32 v47, 0x5fa, v36
	v_lshlrev_b64 v[5:6], 3, v[14:15]
	v_mov_b32_e32 v19, v7
	v_mad_u64_u32 v[14:15], null, s2, v9, 0
	v_add_nc_u32_e32 v48, 0x660, v36
	v_lshlrev_b64 v[7:8], 3, v[18:19]
	v_mad_u64_u32 v[11:12], null, s3, v12, v[4:5]
	v_add_co_u32 v4, s0, v45, v5
	v_add_co_ci_u32_e64 v5, s0, v46, v6, s0
	v_add_co_u32 v6, s0, v45, v7
	v_add_co_ci_u32_e64 v7, s0, v46, v8, s0
	v_mov_b32_e32 v8, v15
	v_mad_u64_u32 v[26:27], null, s3, v9, v[8:9]
	s_clause 0x3
	global_load_dwordx2 v[18:19], v[0:1], off
	global_load_dwordx2 v[12:13], v[2:3], off
	;; [unrolled: 1-line block ×4, first 2 shown]
	v_add_nc_u32_e32 v27, 0x462, v36
	v_mov_b32_e32 v2, v25
	v_lshlrev_b64 v[0:1], 3, v[10:11]
	v_mad_u64_u32 v[6:7], null, s2, v27, 0
	v_mad_u64_u32 v[2:3], null, s3, v28, v[2:3]
	v_mov_b32_e32 v15, v26
	v_add_nc_u32_e32 v28, 0x4c8, v36
	v_add_co_u32 v0, s0, v45, v0
	v_mov_b32_e32 v3, v7
	v_lshlrev_b64 v[10:11], 3, v[14:15]
	v_mov_b32_e32 v25, v2
	v_mad_u64_u32 v[14:15], null, s2, v28, 0
	v_add_co_ci_u32_e64 v1, s0, v46, v1, s0
	v_lshlrev_b64 v[24:25], 3, v[24:25]
	v_add_co_u32 v10, s0, v45, v10
	v_add_co_ci_u32_e64 v11, s0, v46, v11, s0
	v_add_co_u32 v24, s0, v45, v24
	v_add_co_ci_u32_e64 v25, s0, v46, v25, s0
	s_waitcnt vmcnt(0)
	v_mad_u64_u32 v[2:3], null, s3, v27, v[3:4]
	v_mad_u64_u32 v[26:27], null, s2, v39, 0
	v_mov_b32_e32 v7, v2
	v_mov_b32_e32 v2, v15
	v_lshlrev_b64 v[6:7], 3, v[6:7]
	v_mad_u64_u32 v[2:3], null, s3, v28, v[2:3]
	v_mad_u64_u32 v[28:29], null, s2, v42, 0
	v_mov_b32_e32 v3, v27
	v_add_co_u32 v30, s0, v45, v6
	v_add_co_ci_u32_e64 v31, s0, v46, v7, s0
	v_mad_u64_u32 v[39:40], null, s3, v39, v[3:4]
	v_mov_b32_e32 v15, v2
	v_mov_b32_e32 v2, v29
	v_mad_u64_u32 v[40:41], null, s2, v47, 0
	v_lshlrev_b64 v[14:15], 3, v[14:15]
	v_mad_u64_u32 v[42:43], null, s3, v42, v[2:3]
	v_mad_u64_u32 v[43:44], null, s2, v48, 0
	s_clause 0x3
	global_load_dwordx2 v[0:1], v[0:1], off
	global_load_dwordx2 v[2:3], v[10:11], off
	;; [unrolled: 1-line block ×4, first 2 shown]
	v_mov_b32_e32 v24, v41
	v_mov_b32_e32 v27, v39
	v_add_co_u32 v14, s0, v45, v14
	v_mov_b32_e32 v29, v42
	v_mad_u64_u32 v[24:25], null, s3, v47, v[24:25]
	v_lshlrev_b64 v[26:27], 3, v[26:27]
	v_mov_b32_e32 v25, v44
	v_add_co_ci_u32_e64 v15, s0, v46, v15, s0
	v_lshlrev_b64 v[28:29], 3, v[28:29]
	v_mad_u64_u32 v[30:31], null, s3, v48, v[25:26]
	v_mov_b32_e32 v41, v24
	v_add_co_u32 v24, s0, v45, v26
	v_add_co_ci_u32_e64 v25, s0, v46, v27, s0
	v_lshlrev_b64 v[26:27], 3, v[40:41]
	v_mov_b32_e32 v44, v30
	v_add_co_u32 v28, s0, v45, v28
	v_add_co_ci_u32_e64 v29, s0, v46, v29, s0
	v_lshlrev_b64 v[30:31], 3, v[43:44]
	v_add_co_u32 v26, s0, v45, v26
	v_add_co_ci_u32_e64 v27, s0, v46, v27, s0
	v_add_co_u32 v39, s0, v45, v30
	v_add_co_ci_u32_e64 v40, s0, v46, v31, s0
	s_clause 0x4
	global_load_dwordx2 v[14:15], v[14:15], off
	global_load_dwordx2 v[30:31], v[24:25], off
	;; [unrolled: 1-line block ×5, first 2 shown]
	v_mov_b32_e32 v39, v38
.LBB0_13:
	s_or_b32 exec_lo, exec_lo, s1
	v_add_f32_e32 v40, v34, v16
	v_add_f32_e32 v41, v35, v17
	s_waitcnt vmcnt(1)
	v_add_f32_e32 v44, v32, v26
	v_add_f32_e32 v45, v33, v27
	v_sub_f32_e32 v46, v32, v26
	v_add_f32_e32 v40, v32, v40
	v_add_f32_e32 v41, v33, v41
	v_sub_f32_e32 v47, v33, v27
	v_sub_f32_e32 v48, v22, v28
	;; [unrolled: 1-line block ×3, first 2 shown]
	v_add_f32_e32 v40, v22, v40
	v_add_f32_e32 v41, v23, v41
	s_waitcnt vmcnt(0)
	v_add_f32_e32 v42, v34, v24
	v_add_f32_e32 v43, v35, v25
	v_sub_f32_e32 v34, v34, v24
	v_add_f32_e32 v32, v18, v40
	v_add_f32_e32 v33, v19, v41
	;; [unrolled: 1-line block ×8, first 2 shown]
	v_sub_f32_e32 v23, v19, v31
	v_sub_f32_e32 v35, v35, v25
	v_add_f32_e32 v51, v8, v32
	v_add_f32_e32 v49, v9, v49
	v_sub_f32_e32 v32, v18, v30
	v_mul_f32_e32 v52, 0x3f6eb680, v42
	v_mul_f32_e32 v54, 0x3ee437d1, v42
	v_add_f32_e32 v18, v4, v51
	v_add_f32_e32 v19, v5, v49
	v_mul_f32_e32 v51, 0x3f3d2fb0, v42
	v_mul_f32_e32 v56, 0x3dbcf732, v42
	v_mul_f32_e32 v58, 0xbe8c1d8e, v42
	v_add_f32_e32 v18, v0, v18
	v_add_f32_e32 v19, v1, v19
	v_mul_f32_e32 v59, 0xbf1a4643, v42
	;; [unrolled: 5-line block ×3, first 2 shown]
	v_mul_f32_e32 v53, 0xbf2c7751, v34
	v_fmamk_f32 v61, v35, 0x3eb8f4ab, v52
	v_add_f32_e32 v18, v6, v18
	v_add_f32_e32 v19, v7, v19
	v_fmac_f32_e32 v52, 0xbeb8f4ab, v35
	v_fmamk_f32 v63, v35, 0x3f2c7751, v51
	v_fmac_f32_e32 v51, 0xbf2c7751, v35
	v_add_f32_e32 v18, v10, v18
	v_add_f32_e32 v19, v11, v19
	v_mul_f32_e32 v65, 0xbf4c4adb, v34
	v_mul_f32_e32 v67, 0xbf06c442, v34
	;; [unrolled: 1-line block ×3, first 2 shown]
	v_add_f32_e32 v18, v14, v18
	v_add_f32_e32 v19, v15, v19
	v_mul_f32_e32 v57, 0xbf7ee86f, v34
	v_fmamk_f32 v62, v43, 0x3f6eb680, v49
	v_fmamk_f32 v64, v43, 0x3f3d2fb0, v53
	v_add_f32_e32 v18, v30, v18
	v_add_f32_e32 v19, v31, v19
	v_fmamk_f32 v31, v35, 0x3f65296c, v54
	v_fmac_f32_e32 v54, 0xbf65296c, v35
	v_fmamk_f32 v68, v43, 0xbf1a4643, v65
	v_add_f32_e32 v18, v28, v18
	v_add_f32_e32 v19, v29, v19
	v_fmamk_f32 v28, v35, 0x3f7ee86f, v56
	v_fmac_f32_e32 v56, 0xbf7ee86f, v35
	v_fmamk_f32 v29, v35, 0x3f763a35, v58
	v_add_f32_e32 v18, v26, v18
	v_add_f32_e32 v26, v27, v19
	v_fmac_f32_e32 v58, 0xbf763a35, v35
	v_fmamk_f32 v27, v35, 0x3f4c4adb, v59
	v_fmac_f32_e32 v59, 0xbf4c4adb, v35
	v_add_f32_e32 v19, v24, v18
	v_add_f32_e32 v18, v25, v26
	v_fmamk_f32 v24, v35, 0x3f06c442, v60
	v_fmac_f32_e32 v60, 0xbf06c442, v35
	v_fmamk_f32 v25, v35, 0x3e3c28d5, v42
	v_fmac_f32_e32 v42, 0xbe3c28d5, v35
	v_mul_f32_e32 v35, 0xbf763a35, v34
	v_mul_f32_e32 v34, 0xbe3c28d5, v34
	v_fmamk_f32 v69, v43, 0xbf59a7d5, v67
	v_fma_f32 v49, 0x3f6eb680, v43, -v49
	v_fma_f32 v30, 0x3f3d2fb0, v43, -v53
	v_fmamk_f32 v66, v43, 0xbe8c1d8e, v35
	v_fmamk_f32 v26, v43, 0x3ee437d1, v55
	v_fma_f32 v53, 0x3ee437d1, v43, -v55
	v_fmamk_f32 v55, v43, 0x3dbcf732, v57
	v_fma_f32 v57, 0x3dbcf732, v43, -v57
	v_fma_f32 v35, 0xbe8c1d8e, v43, -v35
	;; [unrolled: 1-line block ×4, first 2 shown]
	v_fmamk_f32 v70, v43, 0xbf7ba420, v34
	v_fma_f32 v34, 0xbf7ba420, v43, -v34
	v_add_f32_e32 v43, v61, v16
	v_add_f32_e32 v61, v62, v17
	v_add_f32_e32 v62, v63, v16
	v_add_f32_e32 v63, v64, v17
	v_add_f32_e32 v64, v66, v17
	v_add_f32_e32 v66, v68, v17
	v_add_f32_e32 v68, v69, v17
	v_mul_f32_e32 v69, 0x3f3d2fb0, v44
	v_mul_f32_e32 v71, 0xbf2c7751, v46
	v_add_f32_e32 v52, v52, v16
	v_add_f32_e32 v49, v49, v17
	;; [unrolled: 1-line block ×23, first 2 shown]
	v_fmamk_f32 v72, v47, 0x3f2c7751, v69
	v_add_f32_e32 v16, v42, v16
	v_add_f32_e32 v17, v34, v17
	v_fmamk_f32 v34, v45, 0x3f3d2fb0, v71
	v_mul_f32_e32 v42, 0x3dbcf732, v44
	v_fmac_f32_e32 v69, 0xbf2c7751, v47
	v_add_f32_e32 v43, v72, v43
	v_fma_f32 v71, 0x3f3d2fb0, v45, -v71
	v_add_f32_e32 v34, v34, v61
	v_fmamk_f32 v61, v47, 0x3f7ee86f, v42
	v_mul_f32_e32 v72, 0xbf7ee86f, v46
	v_add_f32_e32 v52, v69, v52
	v_mul_f32_e32 v69, 0xbf1a4643, v44
	v_add_f32_e32 v49, v71, v49
	v_add_f32_e32 v61, v61, v62
	v_fmamk_f32 v62, v45, 0x3dbcf732, v72
	v_fmac_f32_e32 v42, 0xbf7ee86f, v47
	v_fma_f32 v71, 0x3dbcf732, v45, -v72
	v_fmamk_f32 v72, v47, 0x3f4c4adb, v69
	v_mul_f32_e32 v73, 0xbf4c4adb, v46
	v_add_f32_e32 v62, v62, v63
	v_add_f32_e32 v42, v42, v51
	;; [unrolled: 1-line block ×4, first 2 shown]
	v_fmamk_f32 v51, v45, 0xbf1a4643, v73
	v_mul_f32_e32 v63, 0xbf7ba420, v44
	v_fmac_f32_e32 v69, 0xbf4c4adb, v47
	v_fma_f32 v71, 0xbf1a4643, v45, -v73
	v_mul_f32_e32 v72, 0xbe3c28d5, v46
	v_add_f32_e32 v26, v51, v26
	v_fmamk_f32 v51, v47, 0x3e3c28d5, v63
	v_add_f32_e32 v54, v69, v54
	v_add_f32_e32 v53, v71, v53
	v_fmamk_f32 v69, v45, 0xbf7ba420, v72
	v_mul_f32_e32 v71, 0xbf59a7d5, v44
	v_add_f32_e32 v28, v51, v28
	v_fmac_f32_e32 v63, 0xbe3c28d5, v47
	v_fma_f32 v51, 0xbf7ba420, v45, -v72
	v_add_f32_e32 v55, v69, v55
	v_fmamk_f32 v69, v47, 0xbf06c442, v71
	v_mul_f32_e32 v72, 0x3f06c442, v46
	v_add_f32_e32 v56, v63, v56
	v_add_f32_e32 v51, v51, v57
	v_mul_f32_e32 v57, 0xbe8c1d8e, v44
	v_add_f32_e32 v29, v69, v29
	v_fmamk_f32 v63, v45, 0xbf59a7d5, v72
	v_fmac_f32_e32 v71, 0x3f06c442, v47
	v_fma_f32 v69, 0xbf59a7d5, v45, -v72
	v_mul_f32_e32 v73, 0x3f763a35, v46
	v_fmamk_f32 v72, v47, 0xbf763a35, v57
	v_add_f32_e32 v63, v63, v64
	v_add_f32_e32 v58, v71, v58
	;; [unrolled: 1-line block ×3, first 2 shown]
	v_fmamk_f32 v64, v45, 0xbe8c1d8e, v73
	v_fmac_f32_e32 v57, 0x3f763a35, v47
	v_mul_f32_e32 v69, 0x3ee437d1, v44
	v_mul_f32_e32 v71, 0x3f65296c, v46
	;; [unrolled: 1-line block ×3, first 2 shown]
	v_add_f32_e32 v64, v64, v66
	v_add_f32_e32 v57, v57, v59
	v_fmamk_f32 v59, v47, 0xbf65296c, v69
	v_fmamk_f32 v66, v45, 0x3ee437d1, v71
	v_fmac_f32_e32 v69, 0x3f65296c, v47
	v_mul_f32_e32 v46, 0x3eb8f4ab, v46
	v_add_f32_e32 v27, v72, v27
	v_add_f32_e32 v24, v59, v24
	;; [unrolled: 1-line block ×4, first 2 shown]
	v_fmamk_f32 v66, v47, 0xbeb8f4ab, v44
	v_fma_f32 v68, 0x3ee437d1, v45, -v71
	v_fmac_f32_e32 v44, 0x3eb8f4ab, v47
	v_mul_f32_e32 v69, 0x3ee437d1, v40
	v_fma_f32 v72, 0xbe8c1d8e, v45, -v73
	v_fmamk_f32 v47, v45, 0x3f6eb680, v46
	v_fma_f32 v45, 0x3f6eb680, v45, -v46
	v_add_f32_e32 v46, v68, v67
	v_add_f32_e32 v25, v66, v25
	v_fmamk_f32 v66, v50, 0x3f65296c, v69
	v_mul_f32_e32 v67, 0xbf65296c, v48
	v_add_f32_e32 v16, v44, v16
	v_mul_f32_e32 v44, 0xbf1a4643, v40
	v_add_f32_e32 v17, v45, v17
	v_add_f32_e32 v43, v66, v43
	v_fmamk_f32 v45, v41, 0x3ee437d1, v67
	v_fmac_f32_e32 v69, 0xbf65296c, v50
	v_fma_f32 v66, 0x3ee437d1, v41, -v67
	v_fmamk_f32 v67, v50, 0x3f4c4adb, v44
	v_mul_f32_e32 v68, 0xbf4c4adb, v48
	v_add_f32_e32 v34, v45, v34
	v_add_f32_e32 v45, v69, v52
	;; [unrolled: 1-line block ×4, first 2 shown]
	v_fmamk_f32 v61, v41, 0xbf1a4643, v68
	v_mul_f32_e32 v66, 0xbf7ba420, v40
	v_fmac_f32_e32 v44, 0xbf4c4adb, v50
	v_fma_f32 v67, 0xbf1a4643, v41, -v68
	v_mul_f32_e32 v68, 0x3e3c28d5, v48
	v_add_f32_e32 v61, v61, v62
	v_fmamk_f32 v62, v50, 0xbe3c28d5, v66
	v_add_f32_e32 v42, v44, v42
	v_add_f32_e32 v30, v67, v30
	v_fmamk_f32 v44, v41, 0xbf7ba420, v68
	v_mul_f32_e32 v67, 0xbe8c1d8e, v40
	v_add_f32_e32 v31, v62, v31
	v_fma_f32 v62, 0xbf7ba420, v41, -v68
	v_fmac_f32_e32 v66, 0x3e3c28d5, v50
	v_add_f32_e32 v26, v44, v26
	v_fmamk_f32 v44, v50, 0xbf763a35, v67
	v_mul_f32_e32 v68, 0x3f763a35, v48
	v_add_f32_e32 v53, v62, v53
	v_mul_f32_e32 v62, 0x3f3d2fb0, v40
	v_add_f32_e32 v54, v66, v54
	v_add_f32_e32 v28, v44, v28
	v_fmamk_f32 v44, v41, 0xbe8c1d8e, v68
	v_fmac_f32_e32 v67, 0x3f763a35, v50
	v_fma_f32 v66, 0xbe8c1d8e, v41, -v68
	v_fmamk_f32 v68, v50, 0xbf2c7751, v62
	v_mul_f32_e32 v69, 0x3f2c7751, v48
	v_add_f32_e32 v44, v44, v55
	v_add_f32_e32 v55, v67, v56
	;; [unrolled: 1-line block ×4, first 2 shown]
	v_fmamk_f32 v56, v41, 0x3f3d2fb0, v69
	v_mul_f32_e32 v66, 0x3f6eb680, v40
	v_fmac_f32_e32 v62, 0x3f2c7751, v50
	v_fma_f32 v67, 0x3f3d2fb0, v41, -v69
	v_mul_f32_e32 v68, 0xbeb8f4ab, v48
	v_add_f32_e32 v56, v56, v63
	v_fmamk_f32 v63, v50, 0x3eb8f4ab, v66
	v_add_f32_e32 v58, v62, v58
	v_add_f32_e32 v35, v67, v35
	v_fmamk_f32 v62, v41, 0x3f6eb680, v68
	v_mul_f32_e32 v67, 0x3dbcf732, v40
	v_add_f32_e32 v65, v72, v65
	v_add_f32_e32 v27, v63, v27
	v_fma_f32 v63, 0x3f6eb680, v41, -v68
	v_add_f32_e32 v62, v62, v64
	v_fmamk_f32 v64, v50, 0x3f7ee86f, v67
	v_mul_f32_e32 v68, 0xbf7ee86f, v48
	v_fmac_f32_e32 v66, 0xbeb8f4ab, v50
	v_add_f32_e32 v63, v63, v65
	v_mul_f32_e32 v40, 0xbf59a7d5, v40
	v_add_f32_e32 v24, v64, v24
	v_fmamk_f32 v64, v41, 0x3dbcf732, v68
	v_fma_f32 v65, 0x3dbcf732, v41, -v68
	v_mul_f32_e32 v48, 0xbf06c442, v48
	v_add_f32_e32 v57, v66, v57
	v_fmamk_f32 v66, v50, 0x3f06c442, v40
	v_add_f32_e32 v59, v64, v59
	v_add_f32_e32 v46, v65, v46
	v_fmamk_f32 v64, v41, 0xbf59a7d5, v48
	v_mul_f32_e32 v65, 0x3dbcf732, v33
	v_fmac_f32_e32 v40, 0xbf06c442, v50
	v_fma_f32 v41, 0xbf59a7d5, v41, -v48
	v_mul_f32_e32 v48, 0xbf7ee86f, v32
	v_fmac_f32_e32 v67, 0xbf7ee86f, v50
	v_fmamk_f32 v50, v23, 0x3f7ee86f, v65
	v_add_f32_e32 v16, v40, v16
	v_add_f32_e32 v17, v41, v17
	v_fmamk_f32 v40, v22, 0x3dbcf732, v48
	v_mul_f32_e32 v41, 0xbf7ba420, v33
	v_fma_f32 v48, 0x3dbcf732, v22, -v48
	v_add_f32_e32 v47, v47, v70
	v_add_f32_e32 v43, v50, v43
	v_fmac_f32_e32 v65, 0xbf7ee86f, v23
	v_add_f32_e32 v34, v40, v34
	v_fmamk_f32 v40, v23, 0x3e3c28d5, v41
	v_mul_f32_e32 v50, 0xbe3c28d5, v32
	v_add_f32_e32 v48, v48, v49
	v_mul_f32_e32 v49, 0xbe8c1d8e, v33
	v_add_f32_e32 v47, v64, v47
	v_add_f32_e32 v45, v65, v45
	;; [unrolled: 1-line block ×3, first 2 shown]
	v_fmamk_f32 v52, v22, 0xbf7ba420, v50
	v_fmac_f32_e32 v41, 0xbe3c28d5, v23
	v_fma_f32 v50, 0xbf7ba420, v22, -v50
	v_fmamk_f32 v64, v23, 0xbf763a35, v49
	v_mul_f32_e32 v65, 0x3f763a35, v32
	v_add_f32_e32 v52, v52, v61
	v_add_f32_e32 v41, v41, v42
	v_add_f32_e32 v30, v50, v30
	v_add_f32_e32 v31, v64, v31
	v_fmamk_f32 v42, v22, 0xbe8c1d8e, v65
	v_mul_f32_e32 v50, 0x3f6eb680, v33
	v_fmac_f32_e32 v49, 0x3f763a35, v23
	v_fma_f32 v61, 0xbe8c1d8e, v22, -v65
	v_mul_f32_e32 v64, 0x3eb8f4ab, v32
	v_add_f32_e32 v26, v42, v26
	v_fmamk_f32 v42, v23, 0xbeb8f4ab, v50
	v_add_f32_e32 v49, v49, v54
	v_add_f32_e32 v53, v61, v53
	v_fmamk_f32 v54, v22, 0x3f6eb680, v64
	v_mul_f32_e32 v61, 0x3ee437d1, v33
	v_add_f32_e32 v28, v42, v28
	v_fmac_f32_e32 v50, 0x3eb8f4ab, v23
	v_fma_f32 v42, 0x3f6eb680, v22, -v64
	v_add_f32_e32 v44, v54, v44
	v_fmamk_f32 v54, v23, 0x3f65296c, v61
	v_mul_f32_e32 v64, 0xbf65296c, v32
	v_add_f32_e32 v50, v50, v55
	v_add_f32_e32 v42, v42, v51
	v_mul_f32_e32 v51, 0xbf59a7d5, v33
	v_add_f32_e32 v29, v54, v29
	v_fmamk_f32 v54, v22, 0x3ee437d1, v64
	v_fmac_f32_e32 v61, 0xbf65296c, v23
	v_fma_f32 v55, 0x3ee437d1, v22, -v64
	v_mul_f32_e32 v65, 0xbf06c442, v32
	v_fmamk_f32 v64, v23, 0x3f06c442, v51
	v_add_f32_e32 v54, v54, v56
	v_add_f32_e32 v56, v61, v58
	v_add_f32_e32 v35, v55, v35
	v_fmamk_f32 v55, v22, 0xbf59a7d5, v65
	v_mul_f32_e32 v58, 0xbf1a4643, v33
	v_fmac_f32_e32 v51, 0xbf06c442, v23
	v_mul_f32_e32 v61, 0x3f4c4adb, v32
	v_add_f32_e32 v60, v67, v60
	v_add_f32_e32 v55, v55, v62
	v_fmamk_f32 v62, v23, 0xbf4c4adb, v58
	v_add_f32_e32 v51, v51, v57
	v_fmamk_f32 v57, v22, 0xbf1a4643, v61
	v_mul_f32_e32 v33, 0x3f3d2fb0, v33
	v_fmac_f32_e32 v58, 0x3f4c4adb, v23
	v_add_f32_e32 v25, v66, v25
	v_mul_f32_e32 v32, 0x3f2c7751, v32
	v_add_f32_e32 v57, v57, v59
	v_fma_f32 v59, 0xbf1a4643, v22, -v61
	v_fmamk_f32 v61, v23, 0xbf2c7751, v33
	v_add_f32_e32 v58, v58, v60
	v_add_f32_e32 v60, v12, v14
	v_sub_f32_e32 v12, v12, v14
	v_add_f32_e32 v27, v64, v27
	v_fma_f32 v64, 0xbf59a7d5, v22, -v65
	v_add_f32_e32 v24, v62, v24
	v_add_f32_e32 v46, v59, v46
	;; [unrolled: 1-line block ×3, first 2 shown]
	v_fmamk_f32 v59, v22, 0x3f3d2fb0, v32
	v_sub_f32_e32 v61, v13, v15
	v_mul_f32_e32 v62, 0xbe8c1d8e, v60
	v_fmac_f32_e32 v33, 0x3f2c7751, v23
	v_fma_f32 v14, 0x3f3d2fb0, v22, -v32
	v_add_f32_e32 v13, v13, v15
	v_mul_f32_e32 v22, 0xbf763a35, v12
	v_fmamk_f32 v15, v61, 0x3f763a35, v62
	v_add_f32_e32 v16, v33, v16
	v_add_f32_e32 v14, v14, v17
	v_mul_f32_e32 v32, 0xbf59a7d5, v60
	v_fmamk_f32 v17, v13, 0xbe8c1d8e, v22
	v_fmac_f32_e32 v62, 0xbf763a35, v61
	v_mul_f32_e32 v33, 0x3f06c442, v12
	v_add_f32_e32 v23, v59, v47
	v_add_f32_e32 v15, v15, v43
	v_fma_f32 v22, 0xbe8c1d8e, v13, -v22
	v_add_f32_e32 v17, v17, v34
	v_fmamk_f32 v34, v61, 0xbf06c442, v32
	v_add_f32_e32 v43, v62, v45
	v_fmamk_f32 v45, v13, 0xbf59a7d5, v33
	v_mul_f32_e32 v47, 0x3f3d2fb0, v60
	v_fma_f32 v33, 0xbf59a7d5, v13, -v33
	v_add_f32_e32 v22, v22, v48
	v_add_f32_e32 v34, v34, v40
	v_fmac_f32_e32 v32, 0x3f06c442, v61
	v_add_f32_e32 v40, v45, v52
	v_fmamk_f32 v45, v61, 0xbf2c7751, v47
	v_mul_f32_e32 v48, 0x3f2c7751, v12
	v_add_f32_e32 v30, v33, v30
	v_mul_f32_e32 v33, 0x3ee437d1, v60
	v_add_f32_e32 v32, v32, v41
	v_add_f32_e32 v31, v45, v31
	v_fmamk_f32 v41, v13, 0x3f3d2fb0, v48
	v_fmac_f32_e32 v47, 0x3f2c7751, v61
	v_fma_f32 v45, 0x3f3d2fb0, v13, -v48
	v_fmamk_f32 v48, v61, 0x3f65296c, v33
	v_mul_f32_e32 v52, 0xbf65296c, v12
	v_add_f32_e32 v26, v41, v26
	v_add_f32_e32 v41, v47, v49
	v_fmac_f32_e32 v33, 0xbf65296c, v61
	v_add_f32_e32 v28, v48, v28
	v_fmamk_f32 v47, v13, 0x3ee437d1, v52
	v_mul_f32_e32 v48, 0xbf7ba420, v60
	v_fma_f32 v49, 0x3ee437d1, v13, -v52
	v_mul_f32_e32 v52, 0xbe3c28d5, v12
	v_add_f32_e32 v33, v33, v50
	v_add_f32_e32 v44, v47, v44
	v_fmamk_f32 v47, v61, 0x3e3c28d5, v48
	v_mul_f32_e32 v50, 0x3dbcf732, v60
	v_add_f32_e32 v45, v45, v53
	v_add_f32_e32 v42, v49, v42
	v_fmamk_f32 v49, v13, 0xbf7ba420, v52
	v_add_f32_e32 v29, v47, v29
	v_fma_f32 v47, 0xbf7ba420, v13, -v52
	v_fmac_f32_e32 v48, 0xbe3c28d5, v61
	v_fmamk_f32 v52, v61, 0xbf7ee86f, v50
	v_mul_f32_e32 v53, 0x3f7ee86f, v12
	v_add_f32_e32 v49, v49, v54
	v_add_f32_e32 v35, v47, v35
	v_mul_f32_e32 v47, 0x3f6eb680, v60
	v_add_f32_e32 v48, v48, v56
	v_add_f32_e32 v27, v52, v27
	v_fmamk_f32 v52, v13, 0x3dbcf732, v53
	v_mul_f32_e32 v56, 0xbeb8f4ab, v12
	v_fmamk_f32 v54, v61, 0x3eb8f4ab, v47
	v_add_f32_e32 v63, v64, v63
	v_fmac_f32_e32 v50, 0x3f7ee86f, v61
	v_fma_f32 v53, 0x3dbcf732, v13, -v53
	v_add_f32_e32 v52, v52, v55
	v_add_f32_e32 v24, v54, v24
	v_mul_f32_e32 v54, 0xbf1a4643, v60
	v_fma_f32 v55, 0x3f6eb680, v13, -v56
	v_add_f32_e32 v50, v50, v51
	v_add_f32_e32 v51, v53, v63
	v_fmamk_f32 v53, v13, 0x3f6eb680, v56
	v_mul_f32_e32 v12, 0xbf4c4adb, v12
	v_fmamk_f32 v56, v61, 0x3f4c4adb, v54
	v_add_f32_e32 v46, v55, v46
	v_add_f32_e32 v55, v8, v10
	v_sub_f32_e32 v8, v8, v10
	v_add_f32_e32 v53, v53, v57
	v_fmamk_f32 v57, v13, 0xbf1a4643, v12
	v_add_f32_e32 v25, v56, v25
	v_sub_f32_e32 v10, v9, v11
	v_mul_f32_e32 v56, 0xbf1a4643, v55
	v_fmac_f32_e32 v54, 0xbf4c4adb, v61
	v_fma_f32 v12, 0xbf1a4643, v13, -v12
	v_add_f32_e32 v9, v9, v11
	v_mul_f32_e32 v11, 0xbf4c4adb, v8
	v_fmamk_f32 v13, v10, 0x3f4c4adb, v56
	v_add_f32_e32 v16, v54, v16
	v_add_f32_e32 v12, v12, v14
	v_mul_f32_e32 v14, 0xbe8c1d8e, v55
	v_fmamk_f32 v54, v9, 0xbf1a4643, v11
	v_fmac_f32_e32 v56, 0xbf4c4adb, v10
	v_add_f32_e32 v13, v13, v15
	v_fma_f32 v11, 0xbf1a4643, v9, -v11
	v_fmamk_f32 v15, v10, 0xbf763a35, v14
	v_add_f32_e32 v17, v54, v17
	v_mul_f32_e32 v54, 0x3f763a35, v8
	v_add_f32_e32 v43, v56, v43
	v_fmac_f32_e32 v14, 0x3f763a35, v10
	v_mul_f32_e32 v56, 0xbeb8f4ab, v8
	v_add_f32_e32 v11, v11, v22
	v_add_f32_e32 v15, v15, v34
	v_mul_f32_e32 v22, 0x3f6eb680, v55
	v_fmamk_f32 v34, v9, 0xbe8c1d8e, v54
	v_fma_f32 v54, 0xbe8c1d8e, v9, -v54
	v_add_f32_e32 v14, v14, v32
	v_fmamk_f32 v32, v9, 0x3f6eb680, v56
	v_add_f32_e32 v23, v57, v23
	v_fmamk_f32 v57, v10, 0x3eb8f4ab, v22
	v_add_f32_e32 v34, v34, v40
	v_add_f32_e32 v30, v54, v30
	v_mul_f32_e32 v40, 0xbf59a7d5, v55
	v_fmac_f32_e32 v22, 0xbeb8f4ab, v10
	v_fma_f32 v54, 0x3f6eb680, v9, -v56
	v_add_f32_e32 v26, v32, v26
	v_mul_f32_e32 v32, 0xbf06c442, v8
	v_fmamk_f32 v56, v10, 0x3f06c442, v40
	v_add_f32_e32 v22, v22, v41
	v_add_f32_e32 v41, v54, v45
	v_mul_f32_e32 v45, 0x3dbcf732, v55
	v_fmamk_f32 v54, v9, 0xbf59a7d5, v32
	v_add_f32_e32 v28, v56, v28
	v_fma_f32 v32, 0xbf59a7d5, v9, -v32
	v_fmac_f32_e32 v40, 0xbf06c442, v10
	v_fmamk_f32 v56, v10, 0xbf7ee86f, v45
	v_add_f32_e32 v44, v54, v44
	v_mul_f32_e32 v54, 0x3f7ee86f, v8
	v_add_f32_e32 v32, v32, v42
	v_fmac_f32_e32 v45, 0x3f7ee86f, v10
	v_add_f32_e32 v29, v56, v29
	v_mul_f32_e32 v56, 0xbf2c7751, v8
	v_fmamk_f32 v42, v9, 0x3dbcf732, v54
	v_fmac_f32_e32 v47, 0xbeb8f4ab, v61
	v_add_f32_e32 v33, v40, v33
	v_mul_f32_e32 v40, 0x3f3d2fb0, v55
	v_fma_f32 v54, 0x3dbcf732, v9, -v54
	v_add_f32_e32 v42, v42, v49
	v_add_f32_e32 v45, v45, v48
	v_fmamk_f32 v48, v9, 0x3f3d2fb0, v56
	v_mul_f32_e32 v49, 0xbf7ba420, v55
	v_add_f32_e32 v47, v47, v58
	v_add_f32_e32 v31, v57, v31
	v_fmamk_f32 v57, v10, 0x3f2c7751, v40
	v_add_f32_e32 v35, v54, v35
	v_fmac_f32_e32 v40, 0xbf2c7751, v10
	v_fma_f32 v54, 0x3f3d2fb0, v9, -v56
	v_add_f32_e32 v48, v48, v52
	v_mul_f32_e32 v52, 0xbe3c28d5, v8
	v_fmamk_f32 v56, v10, 0x3e3c28d5, v49
	v_fmac_f32_e32 v49, 0xbe3c28d5, v10
	v_add_f32_e32 v40, v40, v50
	v_add_f32_e32 v50, v54, v51
	v_mul_f32_e32 v51, 0x3ee437d1, v55
	v_fmamk_f32 v54, v9, 0xbf7ba420, v52
	v_fma_f32 v52, 0xbf7ba420, v9, -v52
	v_mul_f32_e32 v8, 0x3f65296c, v8
	v_add_f32_e32 v47, v49, v47
	v_add_f32_e32 v49, v4, v6
	v_sub_f32_e32 v4, v4, v6
	v_fmamk_f32 v55, v10, 0xbf65296c, v51
	v_add_f32_e32 v46, v52, v46
	v_fmamk_f32 v52, v9, 0x3ee437d1, v8
	v_fmac_f32_e32 v51, 0x3f65296c, v10
	v_sub_f32_e32 v6, v5, v7
	v_mul_f32_e32 v10, 0xbf59a7d5, v49
	v_fma_f32 v8, 0x3ee437d1, v9, -v8
	v_add_f32_e32 v5, v5, v7
	v_mul_f32_e32 v7, 0xbf06c442, v4
	v_add_f32_e32 v9, v52, v23
	v_fmamk_f32 v23, v6, 0x3f06c442, v10
	v_add_f32_e32 v16, v51, v16
	v_add_f32_e32 v8, v8, v12
	v_fmamk_f32 v12, v5, 0xbf59a7d5, v7
	v_mul_f32_e32 v51, 0x3ee437d1, v49
	v_fma_f32 v7, 0xbf59a7d5, v5, -v7
	v_add_f32_e32 v13, v23, v13
	v_fmac_f32_e32 v10, 0xbf06c442, v6
	v_add_f32_e32 v12, v12, v17
	v_fmamk_f32 v17, v6, 0xbf65296c, v51
	v_mul_f32_e32 v23, 0x3f65296c, v4
	v_add_f32_e32 v7, v7, v11
	v_mul_f32_e32 v11, 0x3dbcf732, v49
	v_add_f32_e32 v10, v10, v43
	v_add_f32_e32 v15, v17, v15
	v_fmamk_f32 v17, v5, 0x3ee437d1, v23
	v_fmac_f32_e32 v51, 0x3f65296c, v6
	v_fma_f32 v23, 0x3ee437d1, v5, -v23
	v_fmamk_f32 v43, v6, 0x3f7ee86f, v11
	v_mul_f32_e32 v52, 0xbf7ee86f, v4
	v_add_f32_e32 v17, v17, v34
	v_add_f32_e32 v14, v51, v14
	;; [unrolled: 1-line block ×4, first 2 shown]
	v_fmamk_f32 v31, v5, 0x3dbcf732, v52
	v_mul_f32_e32 v34, 0xbf1a4643, v49
	v_fmac_f32_e32 v11, 0xbf7ee86f, v6
	v_fma_f32 v43, 0x3dbcf732, v5, -v52
	v_mul_f32_e32 v51, 0x3f4c4adb, v4
	v_add_f32_e32 v26, v31, v26
	v_fmamk_f32 v31, v6, 0xbf4c4adb, v34
	v_add_f32_e32 v11, v11, v22
	v_add_f32_e32 v22, v43, v41
	v_fmamk_f32 v41, v5, 0xbf1a4643, v51
	v_mul_f32_e32 v43, 0x3f6eb680, v49
	v_add_f32_e32 v28, v31, v28
	v_fmac_f32_e32 v34, 0x3f4c4adb, v6
	v_fma_f32 v31, 0xbf1a4643, v5, -v51
	v_add_f32_e32 v41, v41, v44
	v_fmamk_f32 v44, v6, 0x3eb8f4ab, v43
	v_mul_f32_e32 v51, 0xbeb8f4ab, v4
	v_add_f32_e32 v33, v34, v33
	v_fmac_f32_e32 v43, 0xbeb8f4ab, v6
	v_mul_f32_e32 v52, 0xbe3c28d5, v4
	v_add_f32_e32 v29, v44, v29
	v_fmamk_f32 v34, v5, 0x3f6eb680, v51
	v_fma_f32 v44, 0x3f6eb680, v5, -v51
	v_add_f32_e32 v31, v31, v32
	v_mul_f32_e32 v32, 0xbf7ba420, v49
	v_add_f32_e32 v27, v57, v27
	v_add_f32_e32 v34, v34, v42
	;; [unrolled: 1-line block ×4, first 2 shown]
	v_fmamk_f32 v43, v5, 0xbf7ba420, v52
	v_mul_f32_e32 v44, 0x3f3d2fb0, v49
	v_add_f32_e32 v24, v56, v24
	v_fmamk_f32 v51, v6, 0x3e3c28d5, v32
	v_mul_f32_e32 v49, 0xbe8c1d8e, v49
	v_add_f32_e32 v43, v43, v48
	v_fmamk_f32 v48, v6, 0xbf2c7751, v44
	v_fmac_f32_e32 v44, 0x3f2c7751, v6
	v_add_f32_e32 v25, v55, v25
	v_add_f32_e32 v27, v51, v27
	v_fmac_f32_e32 v32, 0xbe3c28d5, v6
	v_mul_f32_e32 v45, 0x3f2c7751, v4
	v_fma_f32 v51, 0xbf7ba420, v5, -v52
	v_add_f32_e32 v24, v48, v24
	v_fmamk_f32 v48, v6, 0x3f763a35, v49
	v_add_f32_e32 v44, v44, v47
	v_add_f32_e32 v47, v0, v2
	;; [unrolled: 1-line block ×3, first 2 shown]
	v_fmamk_f32 v40, v5, 0x3f3d2fb0, v45
	v_add_f32_e32 v50, v51, v50
	v_fma_f32 v45, 0x3f3d2fb0, v5, -v45
	v_mul_f32_e32 v4, 0xbf763a35, v4
	v_add_f32_e32 v25, v48, v25
	v_sub_f32_e32 v48, v1, v3
	v_mul_f32_e32 v51, 0xbf7ba420, v47
	v_sub_f32_e32 v0, v0, v2
	v_add_f32_e32 v45, v45, v46
	v_fmamk_f32 v46, v5, 0xbe8c1d8e, v4
	v_fma_f32 v2, 0xbe8c1d8e, v5, -v4
	v_add_f32_e32 v1, v1, v3
	v_fmamk_f32 v3, v48, 0x3e3c28d5, v51
	v_mul_f32_e32 v4, 0xbe3c28d5, v0
	v_fmac_f32_e32 v49, 0xbf763a35, v6
	v_add_f32_e32 v5, v46, v9
	v_add_f32_e32 v2, v2, v8
	;; [unrolled: 1-line block ×3, first 2 shown]
	v_fmamk_f32 v8, v1, 0xbf7ba420, v4
	v_mul_f32_e32 v9, 0x3f6eb680, v47
	v_fma_f32 v4, 0xbf7ba420, v1, -v4
	v_mul_f32_e32 v13, 0x3eb8f4ab, v0
	v_add_f32_e32 v6, v49, v16
	v_add_f32_e32 v8, v8, v12
	v_fmamk_f32 v12, v48, 0xbeb8f4ab, v9
	v_add_f32_e32 v4, v4, v7
	v_fmamk_f32 v7, v1, 0x3f6eb680, v13
	v_mul_f32_e32 v16, 0xbf59a7d5, v47
	v_fmac_f32_e32 v9, 0x3eb8f4ab, v48
	v_add_f32_e32 v12, v12, v15
	v_fma_f32 v13, 0x3f6eb680, v1, -v13
	v_add_f32_e32 v7, v7, v17
	v_fmamk_f32 v15, v48, 0x3f06c442, v16
	v_mul_f32_e32 v17, 0xbf06c442, v0
	v_add_f32_e32 v9, v9, v14
	v_mul_f32_e32 v14, 0x3f3d2fb0, v47
	v_fmac_f32_e32 v51, 0xbe3c28d5, v48
	v_add_f32_e32 v13, v13, v23
	v_add_f32_e32 v15, v15, v30
	v_fmamk_f32 v23, v1, 0xbf59a7d5, v17
	v_fmac_f32_e32 v16, 0xbf06c442, v48
	v_fma_f32 v17, 0xbf59a7d5, v1, -v17
	v_fmamk_f32 v30, v48, 0xbf2c7751, v14
	v_mul_f32_e32 v46, 0x3f2c7751, v0
	v_add_f32_e32 v10, v51, v10
	v_add_f32_e32 v51, v23, v26
	;; [unrolled: 1-line block ×5, first 2 shown]
	v_fmamk_f32 v22, v1, 0x3f3d2fb0, v46
	v_mul_f32_e32 v23, 0xbf1a4643, v47
	v_fmac_f32_e32 v14, 0x3f2c7751, v48
	v_fma_f32 v26, 0x3f3d2fb0, v1, -v46
	v_mul_f32_e32 v28, 0xbf4c4adb, v0
	v_add_f32_e32 v30, v22, v41
	v_fmamk_f32 v22, v48, 0x3f4c4adb, v23
	v_add_f32_e32 v14, v14, v33
	v_add_f32_e32 v31, v26, v31
	v_fmamk_f32 v26, v1, 0xbf1a4643, v28
	v_mul_f32_e32 v33, 0x3ee437d1, v47
	v_fma_f32 v28, 0xbf1a4643, v1, -v28
	v_add_f32_e32 v22, v22, v29
	v_fmac_f32_e32 v23, 0xbf4c4adb, v48
	v_add_f32_e32 v29, v26, v34
	v_fmamk_f32 v26, v48, 0xbf65296c, v33
	v_mul_f32_e32 v34, 0x3f65296c, v0
	v_add_f32_e32 v28, v28, v35
	v_mul_f32_e32 v35, 0xbe8c1d8e, v47
	v_add_f32_e32 v23, v23, v42
	v_add_f32_e32 v26, v26, v27
	v_fmamk_f32 v27, v1, 0x3ee437d1, v34
	v_fmac_f32_e32 v33, 0x3f65296c, v48
	v_fma_f32 v34, 0x3ee437d1, v1, -v34
	v_fmamk_f32 v41, v48, 0x3f763a35, v35
	v_mul_f32_e32 v42, 0xbf763a35, v0
	v_add_f32_e32 v53, v54, v53
	v_add_f32_e32 v43, v27, v43
	;; [unrolled: 1-line block ×5, first 2 shown]
	v_fma_f32 v34, 0xbe8c1d8e, v1, -v42
	v_mul_f32_e32 v41, 0x3dbcf732, v47
	v_add_f32_e32 v40, v40, v53
	v_fmamk_f32 v33, v1, 0xbe8c1d8e, v42
	v_mul_f32_e32 v0, 0x3f7ee86f, v0
	v_add_f32_e32 v42, v34, v45
	v_fmamk_f32 v34, v48, 0xbf7ee86f, v41
	v_fmac_f32_e32 v41, 0x3f7ee86f, v48
	v_fmac_f32_e32 v35, 0xbf763a35, v48
	v_mad_u32_u24 v58, 0x44, v36, 0
	v_add_f32_e32 v33, v33, v40
	v_fmamk_f32 v40, v1, 0x3dbcf732, v0
	v_fma_f32 v0, 0x3dbcf732, v1, -v0
	v_add_f32_e32 v1, v34, v25
	v_add_f32_e32 v6, v41, v6
	;; [unrolled: 1-line block ×3, first 2 shown]
	ds_write2_b32 v58, v19, v3 offset1:1
	ds_write2_b32 v58, v12, v15 offset0:2 offset1:3
	ds_write2_b32 v58, v17, v22 offset0:4 offset1:5
	;; [unrolled: 1-line block ×6, first 2 shown]
	v_and_b32_e32 v1, 0xff, v36
	v_lshlrev_b32_e32 v60, 6, v36
	v_add_f32_e32 v5, v40, v5
	v_add_f32_e32 v0, v0, v2
	v_lshl_add_u32 v41, v39, 2, 0
	v_mul_lo_u16 v1, 0xf1, v1
	v_sub_nc_u32_e32 v61, v58, v60
	v_lshl_add_u32 v40, v37, 2, 0
	ds_write2_b32 v58, v11, v9 offset0:14 offset1:15
	ds_write_b32 v58, v10 offset:64
	s_waitcnt lgkmcnt(0)
	v_lshrrev_b16 v68, 12, v1
	v_add_nc_u32_e32 v53, 0xa00, v61
	v_add_nc_u32_e32 v63, 0xc00, v61
	;; [unrolled: 1-line block ×4, first 2 shown]
	v_mul_lo_u16 v1, v68, 17
	v_add_nc_u32_e32 v62, 0x400, v61
	v_add_nc_u32_e32 v54, 0x1400, v61
	;; [unrolled: 1-line block ×3, first 2 shown]
	s_barrier
	v_sub_nc_u16 v67, v36, v1
	v_mov_b32_e32 v1, 7
	buffer_gl0_inv
	ds_read_b32 v69, v41
	ds_read_b32 v66, v61
	;; [unrolled: 1-line block ×3, first 2 shown]
	ds_read2_b32 v[34:35], v62 offset0:50 offset1:152
	ds_read2_b32 v[46:47], v52 offset0:126 offset1:228
	;; [unrolled: 1-line block ×3, first 2 shown]
	v_lshlrev_b32_sdwa v12, v1, v67 dst_sel:DWORD dst_unused:UNUSED_PAD src0_sel:DWORD src1_sel:BYTE_0
	ds_read2_b32 v[77:78], v63 offset0:150 offset1:252
	ds_read2_b32 v[22:23], v64 offset0:98 offset1:200
	;; [unrolled: 1-line block ×4, first 2 shown]
	s_waitcnt lgkmcnt(0)
	s_barrier
	buffer_gl0_inv
	ds_write2_b32 v58, v18, v8 offset1:1
	ds_write2_b32 v58, v7, v51 offset0:2 offset1:3
	ds_write2_b32 v58, v30, v29 offset0:4 offset1:5
	;; [unrolled: 1-line block ×7, first 2 shown]
	ds_write_b32 v58, v4 offset:64
	s_waitcnt lgkmcnt(0)
	s_barrier
	buffer_gl0_inv
	s_clause 0x7
	global_load_dwordx4 v[30:33], v12, s[8:9] offset:16
	global_load_dwordx4 v[42:45], v12, s[8:9] offset:32
	;; [unrolled: 1-line block ×5, first 2 shown]
	global_load_dwordx4 v[8:11], v12, s[8:9]
	global_load_dwordx4 v[16:19], v12, s[8:9] offset:112
	global_load_dwordx4 v[12:15], v12, s[8:9] offset:96
	ds_read2_b32 v[50:51], v62 offset0:50 offset1:152
	ds_read2_b32 v[75:76], v52 offset0:126 offset1:228
	;; [unrolled: 1-line block ×4, first 2 shown]
	v_cmp_gt_u32_e64 s0, 0x55, v36
	s_waitcnt vmcnt(7) lgkmcnt(3)
	v_mul_f32_e32 v52, v50, v31
	v_mul_f32_e32 v57, v34, v31
	;; [unrolled: 1-line block ×4, first 2 shown]
	s_waitcnt vmcnt(6) lgkmcnt(2)
	v_mul_f32_e32 v33, v75, v43
	v_fma_f32 v59, v34, v30, -v52
	v_mul_f32_e32 v52, v46, v43
	v_fma_f32 v56, v35, v32, -v31
	v_fmac_f32_e32 v55, v51, v32
	v_mul_f32_e32 v32, v76, v45
	v_fma_f32 v53, v46, v42, -v33
	v_fmac_f32_e32 v52, v75, v42
	ds_read_b32 v75, v41
	s_waitcnt vmcnt(5) lgkmcnt(2)
	v_mul_f32_e32 v33, v79, v72
	v_fmac_f32_e32 v57, v50, v30
	v_mul_f32_e32 v50, v47, v45
	v_fma_f32 v51, v47, v44, -v32
	v_mul_f32_e32 v32, v80, v74
	v_fma_f32 v47, v48, v71, -v33
	s_waitcnt vmcnt(4) lgkmcnt(1)
	v_mul_f32_e32 v33, v28, v1
	ds_read2_b32 v[30:31], v64 offset0:98 offset1:200
	v_fmac_f32_e32 v50, v76, v44
	ds_read_b32 v76, v40
	v_fma_f32 v43, v49, v73, -v32
	v_fma_f32 v44, v77, v0, -v33
	ds_read2_b32 v[34:35], v65 offset0:122 offset1:224
	ds_read2_b32 v[32:33], v54 offset0:46 offset1:148
	v_mul_f32_e32 v46, v48, v72
	v_mul_f32_e32 v42, v49, v74
	;; [unrolled: 1-line block ×5, first 2 shown]
	s_waitcnt vmcnt(2)
	v_mul_f32_e32 v72, v70, v11
	v_fmac_f32_e32 v42, v80, v73
	v_fma_f32 v49, v78, v2, -v49
	v_fmac_f32_e32 v48, v29, v2
	s_waitcnt lgkmcnt(4)
	v_mul_f32_e32 v2, v75, v9
	v_mul_f32_e32 v73, v69, v9
	v_mul_f32_e32 v29, v22, v5
	v_mul_f32_e32 v54, v23, v7
	v_fmac_f32_e32 v46, v79, v71
	v_fma_f32 v74, v69, v8, -v2
	s_waitcnt vmcnt(1)
	v_mul_f32_e32 v69, v27, v19
	s_waitcnt lgkmcnt(3)
	v_mul_f32_e32 v1, v30, v5
	v_mul_f32_e32 v3, v31, v7
	v_fmac_f32_e32 v73, v75, v8
	s_waitcnt lgkmcnt(1)
	v_mul_f32_e32 v2, v34, v17
	v_mul_f32_e32 v5, v35, v19
	v_fmac_f32_e32 v69, v35, v18
	v_mul_f32_e32 v17, v26, v17
	v_fma_f32 v23, v23, v6, -v3
	v_mul_f32_e32 v3, v76, v11
	v_fmac_f32_e32 v72, v76, v10
	v_fma_f32 v19, v26, v16, -v2
	v_fma_f32 v18, v27, v18, -v5
	v_sub_f32_e32 v5, v73, v69
	v_fmac_f32_e32 v17, v34, v16
	s_waitcnt vmcnt(0)
	v_mul_f32_e32 v16, v25, v15
	v_fmac_f32_e32 v54, v31, v6
	v_fma_f32 v70, v70, v10, -v3
	s_waitcnt lgkmcnt(0)
	v_mul_f32_e32 v3, v32, v13
	v_mul_f32_e32 v13, v24, v13
	v_add_f32_e32 v6, v74, v18
	v_mul_f32_e32 v7, 0xbeb8f4ab, v5
	v_sub_f32_e32 v8, v72, v17
	v_mul_f32_e32 v9, v33, v15
	v_fmac_f32_e32 v16, v33, v14
	v_add_f32_e32 v2, v66, v74
	v_fmac_f32_e32 v13, v32, v12
	v_fma_f32 v10, 0x3f6eb680, v6, -v7
	v_add_f32_e32 v15, v70, v19
	v_mul_f32_e32 v26, 0xbf2c7751, v8
	v_fma_f32 v14, v25, v14, -v9
	v_sub_f32_e32 v9, v57, v16
	v_add_f32_e32 v2, v2, v70
	v_add_f32_e32 v10, v66, v10
	v_fma_f32 v11, 0x3f3d2fb0, v15, -v26
	v_add_f32_e32 v25, v59, v14
	v_mul_f32_e32 v27, 0xbf65296c, v9
	v_fma_f32 v12, v24, v12, -v3
	v_sub_f32_e32 v3, v55, v13
	v_add_f32_e32 v2, v2, v59
	v_add_f32_e32 v10, v11, v10
	v_fma_f32 v11, 0x3ee437d1, v25, -v27
	v_add_f32_e32 v24, v56, v12
	v_mul_f32_e32 v31, 0xbf7ee86f, v3
	v_fmac_f32_e32 v29, v30, v4
	v_sub_f32_e32 v30, v52, v54
	v_add_f32_e32 v2, v2, v56
	v_add_f32_e32 v10, v11, v10
	v_fma_f32 v32, 0x3dbcf732, v24, -v31
	v_add_f32_e32 v33, v53, v23
	v_mul_f32_e32 v34, 0xbf763a35, v30
	v_fma_f32 v11, v22, v4, -v1
	v_sub_f32_e32 v1, v50, v29
	v_add_f32_e32 v2, v2, v53
	v_add_f32_e32 v4, v32, v10
	v_fma_f32 v10, 0xbe8c1d8e, v33, -v34
	v_add_f32_e32 v22, v51, v11
	v_mul_f32_e32 v32, 0xbf4c4adb, v1
	v_fmac_f32_e32 v45, v28, v0
	v_sub_f32_e32 v0, v46, v48
	v_add_f32_e32 v2, v2, v51
	v_add_f32_e32 v4, v10, v4
	v_fma_f32 v10, 0xbf1a4643, v22, -v32
	v_add_f32_e32 v28, v47, v49
	v_mul_f32_e32 v35, 0xbf06c442, v0
	v_add_f32_e32 v2, v2, v47
	v_mul_f32_e32 v78, 0xbf2c7751, v5
	;; [unrolled: 2-line block ×3, first 2 shown]
	v_fma_f32 v10, 0xbf59a7d5, v28, -v35
	v_add_f32_e32 v2, v2, v43
	v_fma_f32 v82, 0x3f3d2fb0, v6, -v78
	v_mul_f32_e32 v83, 0xbf7ee86f, v8
	v_mul_f32_e32 v84, 0xbf4c4adb, v8
	v_add_f32_e32 v4, v10, v4
	v_fma_f32 v10, 0x3ee437d1, v6, -v81
	v_add_f32_e32 v2, v2, v44
	v_add_f32_e32 v82, v66, v82
	v_fma_f32 v85, 0x3dbcf732, v15, -v83
	v_mul_f32_e32 v86, 0xbf4c4adb, v9
	v_add_f32_e32 v10, v66, v10
	v_fma_f32 v87, 0xbf1a4643, v15, -v84
	v_mul_f32_e32 v88, 0x3e3c28d5, v9
	v_add_f32_e32 v2, v2, v49
	v_add_f32_e32 v82, v85, v82
	v_fma_f32 v85, 0xbf1a4643, v25, -v86
	v_mul_f32_e32 v89, 0xbe3c28d5, v3
	v_add_f32_e32 v10, v87, v10
	v_fma_f32 v87, 0xbf7ba420, v25, -v88
	v_mul_f32_e32 v90, 0x3f763a35, v3
	v_add_f32_e32 v2, v2, v11
	v_mov_b32_e32 v76, 0x484
	v_add_f32_e32 v82, v85, v82
	v_fma_f32 v85, 0xbf7ba420, v24, -v89
	v_mul_f32_e32 v91, 0x3f06c442, v30
	v_add_f32_e32 v10, v87, v10
	v_fma_f32 v87, 0xbe8c1d8e, v24, -v90
	v_mul_f32_e32 v92, 0x3f2c7751, v30
	v_add_f32_e32 v2, v2, v23
	v_mul_u32_u24_sdwa v68, v68, v76 dst_sel:DWORD dst_unused:UNUSED_PAD src0_sel:WORD_0 src1_sel:DWORD
	v_add_f32_e32 v76, v85, v82
	v_fma_f32 v82, 0xbf59a7d5, v33, -v91
	v_add_f32_e32 v10, v87, v10
	v_fma_f32 v85, 0x3f3d2fb0, v33, -v92
	v_mul_f32_e32 v87, 0x3f763a35, v1
	v_mul_f32_e32 v93, 0xbeb8f4ab, v1
	v_sub_f32_e32 v75, v42, v45
	v_add_f32_e32 v2, v2, v12
	v_mov_b32_e32 v80, 2
	v_add_f32_e32 v76, v82, v76
	v_add_f32_e32 v10, v85, v10
	v_fma_f32 v82, 0xbe8c1d8e, v22, -v87
	v_fma_f32 v85, 0x3f6eb680, v22, -v93
	v_mul_f32_e32 v95, 0x3f65296c, v0
	v_mul_f32_e32 v96, 0xbf7ee86f, v0
	v_add_f32_e32 v77, v43, v44
	v_mul_f32_e32 v79, 0xbe3c28d5, v75
	v_add_f32_e32 v2, v2, v14
	v_lshlrev_b32_sdwa v67, v80, v67 dst_sel:DWORD dst_unused:UNUSED_PAD src0_sel:DWORD src1_sel:BYTE_0
	v_add_f32_e32 v76, v82, v76
	v_add_f32_e32 v10, v85, v10
	v_fma_f32 v80, 0x3ee437d1, v28, -v95
	v_fma_f32 v82, 0x3dbcf732, v28, -v96
	v_mul_f32_e32 v85, 0x3eb8f4ab, v75
	v_mul_f32_e32 v97, 0xbf06c442, v75
	v_fma_f32 v94, 0xbf7ba420, v77, -v79
	v_add_f32_e32 v2, v2, v19
	v_add_f32_e32 v76, v80, v76
	;; [unrolled: 1-line block ×3, first 2 shown]
	v_fma_f32 v82, 0x3f6eb680, v77, -v85
	v_fma_f32 v98, 0xbf59a7d5, v77, -v97
	v_add_f32_e32 v4, v94, v4
	v_add3_u32 v10, 0, v68, v67
	v_add_f32_e32 v2, v2, v18
	v_add_f32_e32 v67, v82, v76
	;; [unrolled: 1-line block ×3, first 2 shown]
	ds_read_b32 v71, v61
	s_waitcnt lgkmcnt(0)
	s_barrier
	buffer_gl0_inv
	ds_write2_b32 v10, v2, v4 offset1:17
	ds_write2_b32 v10, v67, v68 offset0:34 offset1:51
	v_mul_f32_e32 v2, 0xbf7ee86f, v5
	v_mul_f32_e32 v4, 0xbf763a35, v5
	;; [unrolled: 1-line block ×5, first 2 shown]
	v_fmac_f32_e32 v7, 0x3f6eb680, v6
	v_fmac_f32_e32 v78, 0x3f3d2fb0, v6
	;; [unrolled: 1-line block ×3, first 2 shown]
	v_fma_f32 v67, 0x3dbcf732, v6, -v2
	v_fmac_f32_e32 v2, 0x3dbcf732, v6
	v_fma_f32 v76, 0xbe8c1d8e, v6, -v4
	v_fmac_f32_e32 v4, 0xbe8c1d8e, v6
	;; [unrolled: 2-line block ×5, first 2 shown]
	v_add_f32_e32 v6, v66, v7
	v_add_f32_e32 v7, v66, v78
	v_add_f32_e32 v78, v66, v81
	v_add_f32_e32 v67, v66, v67
	v_add_f32_e32 v2, v66, v2
	v_add_f32_e32 v76, v66, v76
	v_add_f32_e32 v4, v66, v4
	v_add_f32_e32 v81, v66, v82
	v_add_f32_e32 v68, v66, v68
	v_add_f32_e32 v82, v66, v94
	v_add_f32_e32 v80, v66, v80
	v_add_f32_e32 v94, v66, v98
	v_fmac_f32_e32 v26, 0x3f3d2fb0, v15
	v_fmac_f32_e32 v83, 0x3dbcf732, v15
	v_add_f32_e32 v5, v66, v5
	v_mul_f32_e32 v66, 0xbe3c28d5, v8
	v_fmac_f32_e32 v84, 0xbf1a4643, v15
	v_add_f32_e32 v6, v26, v6
	v_add_f32_e32 v7, v83, v7
	v_mul_f32_e32 v26, 0x3f06c442, v8
	v_fma_f32 v83, 0xbf7ba420, v15, -v66
	v_add_f32_e32 v78, v84, v78
	v_fmac_f32_e32 v66, 0xbf7ba420, v15
	v_mul_f32_e32 v84, 0x3f763a35, v8
	v_fma_f32 v98, 0xbf59a7d5, v15, -v26
	v_add_f32_e32 v67, v83, v67
	v_fmac_f32_e32 v26, 0xbf59a7d5, v15
	v_add_f32_e32 v2, v66, v2
	v_fma_f32 v66, 0xbe8c1d8e, v15, -v84
	v_mul_f32_e32 v83, 0x3f65296c, v8
	v_mul_f32_e32 v8, 0x3eb8f4ab, v8
	v_add_f32_e32 v4, v26, v4
	v_fmac_f32_e32 v84, 0xbe8c1d8e, v15
	v_add_f32_e32 v26, v66, v81
	v_fma_f32 v66, 0x3ee437d1, v15, -v83
	v_fma_f32 v81, 0x3f6eb680, v15, -v8
	v_fmac_f32_e32 v8, 0x3f6eb680, v15
	v_fmac_f32_e32 v83, 0x3ee437d1, v15
	v_add_f32_e32 v15, v84, v68
	v_add_f32_e32 v66, v66, v82
	v_fmac_f32_e32 v27, 0x3ee437d1, v25
	v_add_f32_e32 v5, v8, v5
	v_mul_f32_e32 v8, 0x3f763a35, v9
	v_add_f32_e32 v68, v83, v80
	v_add_f32_e32 v80, v81, v94
	v_mul_f32_e32 v82, 0xbeb8f4ab, v9
	v_add_f32_e32 v6, v27, v6
	v_fma_f32 v81, 0xbe8c1d8e, v25, -v8
	v_fmac_f32_e32 v8, 0xbe8c1d8e, v25
	v_mul_f32_e32 v27, 0x3f2c7751, v9
	v_fmac_f32_e32 v88, 0xbf7ba420, v25
	v_fmac_f32_e32 v31, 0x3dbcf732, v24
	v_add_f32_e32 v67, v81, v67
	v_add_f32_e32 v2, v8, v2
	v_fma_f32 v8, 0x3f6eb680, v25, -v82
	v_mul_f32_e32 v81, 0xbf7ee86f, v9
	v_fma_f32 v83, 0x3f3d2fb0, v25, -v27
	v_fmac_f32_e32 v27, 0x3f3d2fb0, v25
	v_mul_f32_e32 v9, 0xbf06c442, v9
	v_add_f32_e32 v8, v8, v26
	v_fma_f32 v26, 0x3dbcf732, v25, -v81
	v_add_f32_e32 v76, v98, v76
	v_fmac_f32_e32 v86, 0xbf1a4643, v25
	v_add_f32_e32 v78, v88, v78
	v_add_f32_e32 v4, v27, v4
	v_fmac_f32_e32 v82, 0x3f6eb680, v25
	v_fmac_f32_e32 v81, 0x3dbcf732, v25
	v_fma_f32 v27, 0xbf59a7d5, v25, -v9
	v_fmac_f32_e32 v9, 0xbf59a7d5, v25
	v_add_f32_e32 v25, v26, v66
	v_mul_f32_e32 v66, 0x3eb8f4ab, v3
	v_fmac_f32_e32 v90, 0xbe8c1d8e, v24
	v_add_f32_e32 v6, v31, v6
	v_mul_f32_e32 v31, 0xbf65296c, v3
	v_add_f32_e32 v76, v83, v76
	v_add_f32_e32 v26, v81, v68
	;; [unrolled: 1-line block ×4, first 2 shown]
	v_fma_f32 v9, 0x3f6eb680, v24, -v66
	v_add_f32_e32 v68, v90, v78
	v_fmac_f32_e32 v66, 0x3f6eb680, v24
	v_mul_f32_e32 v78, 0xbf06c442, v3
	v_fma_f32 v80, 0x3ee437d1, v24, -v31
	v_add_f32_e32 v9, v9, v67
	v_fmac_f32_e32 v31, 0x3ee437d1, v24
	v_add_f32_e32 v2, v66, v2
	v_fma_f32 v66, 0xbf59a7d5, v24, -v78
	v_add_f32_e32 v67, v80, v76
	v_mul_f32_e32 v76, 0x3f4c4adb, v3
	v_mul_f32_e32 v3, 0x3f2c7751, v3
	v_add_f32_e32 v4, v31, v4
	v_add_f32_e32 v8, v66, v8
	v_fmac_f32_e32 v89, 0xbf7ba420, v24
	v_fma_f32 v31, 0xbf1a4643, v24, -v76
	v_fmac_f32_e32 v76, 0xbf1a4643, v24
	v_fma_f32 v66, 0x3f3d2fb0, v24, -v3
	v_fmac_f32_e32 v3, 0x3f3d2fb0, v24
	v_fmac_f32_e32 v78, 0xbf59a7d5, v24
	v_add_f32_e32 v24, v31, v25
	v_add_f32_e32 v25, v76, v26
	;; [unrolled: 1-line block ×3, first 2 shown]
	v_fmac_f32_e32 v34, 0xbe8c1d8e, v33
	v_add_f32_e32 v3, v3, v5
	v_mul_f32_e32 v5, 0xbf65296c, v30
	v_fmac_f32_e32 v92, 0x3f3d2fb0, v33
	v_mul_f32_e32 v27, 0xbe3c28d5, v30
	v_add_f32_e32 v6, v34, v6
	v_mul_f32_e32 v66, 0x3f7ee86f, v30
	v_fma_f32 v31, 0x3ee437d1, v33, -v5
	v_add_f32_e32 v34, v92, v68
	v_fmac_f32_e32 v5, 0x3ee437d1, v33
	v_fma_f32 v68, 0xbf7ba420, v33, -v27
	v_fmac_f32_e32 v27, 0xbf7ba420, v33
	v_add_f32_e32 v9, v31, v9
	v_fmac_f32_e32 v32, 0xbf1a4643, v22
	v_add_f32_e32 v2, v5, v2
	v_fma_f32 v5, 0x3dbcf732, v33, -v66
	v_add_f32_e32 v31, v68, v67
	v_mul_f32_e32 v67, 0xbeb8f4ab, v30
	v_add_f32_e32 v4, v27, v4
	v_mul_f32_e32 v27, 0xbf4c4adb, v30
	v_add_f32_e32 v5, v5, v8
	v_fmac_f32_e32 v93, 0x3f6eb680, v22
	v_fma_f32 v8, 0x3f6eb680, v33, -v67
	v_fmac_f32_e32 v67, 0x3f6eb680, v33
	v_fma_f32 v30, 0xbf1a4643, v33, -v27
	v_fmac_f32_e32 v27, 0xbf1a4643, v33
	v_add_f32_e32 v6, v32, v6
	v_add_f32_e32 v8, v8, v24
	;; [unrolled: 1-line block ×5, first 2 shown]
	v_mul_f32_e32 v26, 0xbf06c442, v1
	v_mul_f32_e32 v27, 0x3f7ee86f, v1
	v_add_f32_e32 v32, v93, v34
	v_fmac_f32_e32 v91, 0xbf59a7d5, v33
	v_fmac_f32_e32 v66, 0x3dbcf732, v33
	v_fma_f32 v30, 0xbf59a7d5, v22, -v26
	v_fma_f32 v34, 0x3dbcf732, v22, -v27
	v_fmac_f32_e32 v26, 0xbf59a7d5, v22
	v_mul_f32_e32 v33, 0xbf2c7751, v1
	v_fmac_f32_e32 v27, 0x3dbcf732, v22
	v_add_f32_e32 v9, v30, v9
	v_add_f32_e32 v30, v34, v31
	v_mul_f32_e32 v31, 0xbe3c28d5, v1
	v_mul_f32_e32 v1, 0x3f65296c, v1
	v_add_f32_e32 v2, v26, v2
	v_fma_f32 v26, 0x3f3d2fb0, v22, -v33
	v_add_f32_e32 v4, v27, v4
	v_add_f32_e32 v7, v86, v7
	v_fma_f32 v27, 0x3ee437d1, v22, -v1
	v_fmac_f32_e32 v1, 0x3ee437d1, v22
	v_add_f32_e32 v5, v26, v5
	v_fma_f32 v26, 0xbf7ba420, v22, -v31
	v_fmac_f32_e32 v31, 0xbf7ba420, v22
	v_add_f32_e32 v7, v89, v7
	v_add_f32_e32 v1, v1, v3
	v_mul_f32_e32 v3, 0x3f4c4adb, v0
	v_fmac_f32_e32 v87, 0xbe8c1d8e, v22
	v_fmac_f32_e32 v33, 0x3f3d2fb0, v22
	v_add_f32_e32 v8, v26, v8
	v_add_f32_e32 v22, v31, v24
	;; [unrolled: 1-line block ×3, first 2 shown]
	v_fmac_f32_e32 v96, 0x3dbcf732, v28
	v_mul_f32_e32 v25, 0xbeb8f4ab, v0
	v_fma_f32 v26, 0xbf1a4643, v28, -v3
	v_add_f32_e32 v15, v82, v15
	v_fmac_f32_e32 v3, 0xbf1a4643, v28
	v_mul_f32_e32 v31, 0xbe3c28d5, v0
	v_add_f32_e32 v7, v91, v7
	v_add_f32_e32 v27, v96, v32
	v_fma_f32 v32, 0x3f6eb680, v28, -v25
	v_add_f32_e32 v9, v26, v9
	v_fmac_f32_e32 v25, 0x3f6eb680, v28
	v_mul_f32_e32 v26, 0x3f2c7751, v0
	v_mul_f32_e32 v0, 0xbf763a35, v0
	v_add_f32_e32 v15, v78, v15
	v_fmac_f32_e32 v35, 0xbf59a7d5, v28
	v_add_f32_e32 v2, v3, v2
	v_fma_f32 v3, 0xbf7ba420, v28, -v31
	v_add_f32_e32 v7, v87, v7
	v_fmac_f32_e32 v95, 0x3ee437d1, v28
	v_add_f32_e32 v4, v25, v4
	v_fma_f32 v25, 0xbe8c1d8e, v28, -v0
	v_fmac_f32_e32 v0, 0xbe8c1d8e, v28
	v_add_f32_e32 v15, v66, v15
	v_add_f32_e32 v6, v35, v6
	;; [unrolled: 1-line block ×3, first 2 shown]
	v_fma_f32 v5, 0x3f3d2fb0, v28, -v26
	v_fmac_f32_e32 v26, 0x3f3d2fb0, v28
	v_fmac_f32_e32 v79, 0xbf7ba420, v77
	v_add_f32_e32 v7, v95, v7
	v_fmac_f32_e32 v85, 0x3f6eb680, v77
	v_add_f32_e32 v0, v0, v1
	v_mul_f32_e32 v1, 0x3f2c7751, v75
	v_add_f32_e32 v15, v33, v15
	v_fmac_f32_e32 v31, 0xbf7ba420, v28
	v_add_f32_e32 v5, v5, v8
	v_add_f32_e32 v8, v26, v22
	;; [unrolled: 1-line block ×4, first 2 shown]
	v_mul_f32_e32 v6, 0xbf4c4adb, v75
	v_add_f32_e32 v26, v85, v7
	v_fma_f32 v7, 0x3f3d2fb0, v77, -v1
	v_mul_f32_e32 v24, 0x3f65296c, v75
	v_fmac_f32_e32 v1, 0x3f3d2fb0, v77
	v_add_f32_e32 v30, v32, v30
	v_add_f32_e32 v15, v31, v15
	v_fma_f32 v31, 0xbf1a4643, v77, -v6
	v_add_f32_e32 v7, v7, v9
	v_fma_f32 v9, 0x3ee437d1, v77, -v24
	v_add_f32_e32 v28, v1, v2
	v_mul_f32_e32 v2, 0xbf763a35, v75
	v_add_f32_e32 v1, v31, v30
	v_mul_f32_e32 v30, 0x3f7ee86f, v75
	v_add_f32_e32 v3, v9, v3
	v_fmac_f32_e32 v24, 0x3ee437d1, v77
	v_fma_f32 v9, 0xbe8c1d8e, v77, -v2
	v_fmac_f32_e32 v2, 0xbe8c1d8e, v77
	v_fma_f32 v31, 0x3dbcf732, v77, -v30
	v_fmac_f32_e32 v30, 0x3dbcf732, v77
	v_fmac_f32_e32 v6, 0xbf1a4643, v77
	;; [unrolled: 1-line block ×3, first 2 shown]
	v_add_f32_e32 v5, v9, v5
	v_add_f32_e32 v9, v31, v22
	;; [unrolled: 1-line block ×7, first 2 shown]
	ds_write2_b32 v10, v7, v1 offset0:68 offset1:85
	ds_write2_b32 v10, v3, v5 offset0:102 offset1:119
	;; [unrolled: 1-line block ×6, first 2 shown]
	ds_write_b32 v10, v25 offset:1088
	v_add_nc_u32_e32 v0, 0x800, v61
	s_waitcnt lgkmcnt(0)
	s_barrier
	buffer_gl0_inv
	ds_read2_b32 v[4:5], v62 offset0:33 offset1:135
	ds_read2_b32 v[8:9], v0 offset0:66 offset1:168
	;; [unrolled: 1-line block ×5, first 2 shown]
	ds_read_b32 v31, v61
	ds_read_b32 v32, v41
	v_sub_nc_u32_e32 v15, 0, v60
                                        ; implicit-def: $vgpr30
	v_add_nc_u32_e32 v58, v58, v15
	s_and_saveexec_b32 s1, s0
	s_cbranch_execz .LBB0_15
; %bb.14:
	ds_read_b32 v24, v40
	ds_read_b32 v28, v58 offset:1972
	ds_read_b32 v27, v58 offset:3128
	;; [unrolled: 1-line block ×5, first 2 shown]
.LBB0_15:
	s_or_b32 exec_lo, exec_lo, s1
	v_add_f32_e32 v15, v71, v73
	v_sub_f32_e32 v18, v74, v18
	v_add_f32_e32 v22, v73, v69
	v_sub_f32_e32 v19, v70, v19
	v_add_f32_e32 v33, v72, v17
	v_add_f32_e32 v15, v15, v72
	v_mul_f32_e32 v35, 0xbf2c7751, v18
	v_mul_f32_e32 v60, 0xbf65296c, v18
	;; [unrolled: 1-line block ×4, first 2 shown]
	v_add_f32_e32 v15, v15, v57
	v_mul_f32_e32 v66, 0xbf7ee86f, v19
	v_mul_f32_e32 v67, 0xbf4c4adb, v19
	v_fmamk_f32 v73, v22, 0x3f3d2fb0, v35
	v_fma_f32 v35, 0x3f3d2fb0, v22, -v35
	v_add_f32_e32 v15, v15, v55
	v_fmamk_f32 v74, v22, 0x3ee437d1, v60
	v_fma_f32 v60, 0x3ee437d1, v22, -v60
	v_mul_f32_e32 v63, 0xbf4c4adb, v18
	v_mul_f32_e32 v68, 0xbe3c28d5, v19
	v_add_f32_e32 v15, v15, v52
	v_mul_f32_e32 v70, 0x3f06c442, v19
	v_fmamk_f32 v75, v22, 0x3dbcf732, v61
	v_fma_f32 v61, 0x3dbcf732, v22, -v61
	v_fmamk_f32 v76, v22, 0xbe8c1d8e, v62
	v_add_f32_e32 v15, v15, v50
	v_fma_f32 v62, 0xbe8c1d8e, v22, -v62
	v_fmamk_f32 v80, v33, 0x3dbcf732, v66
	v_fma_f32 v66, 0x3dbcf732, v33, -v66
	v_fmamk_f32 v81, v33, 0xbf1a4643, v67
	v_add_f32_e32 v15, v15, v46
	v_fma_f32 v67, 0xbf1a4643, v33, -v67
	v_add_f32_e32 v35, v71, v35
	v_add_f32_e32 v60, v71, v60
	v_mul_f32_e32 v34, 0xbeb8f4ab, v18
	v_add_f32_e32 v15, v15, v42
	v_mul_f32_e32 v64, 0xbf06c442, v18
	v_mul_f32_e32 v18, 0xbe3c28d5, v18
	v_fmamk_f32 v77, v22, 0xbf1a4643, v63
	v_fma_f32 v63, 0xbf1a4643, v22, -v63
	v_add_f32_e32 v15, v15, v45
	v_add_f32_e32 v61, v71, v61
	v_add_f32_e32 v62, v71, v62
	v_add_f32_e32 v35, v66, v35
	v_fmamk_f32 v66, v33, 0xbf7ba420, v68
	v_add_f32_e32 v15, v15, v48
	v_add_f32_e32 v60, v67, v60
	v_fma_f32 v67, 0xbf7ba420, v33, -v68
	v_mul_f32_e32 v68, 0x3f763a35, v19
	v_mul_f32_e32 v65, 0xbf2c7751, v19
	v_add_f32_e32 v15, v15, v29
	v_fmamk_f32 v72, v22, 0x3f6eb680, v34
	v_fma_f32 v34, 0x3f6eb680, v22, -v34
	v_fmamk_f32 v78, v22, 0xbf59a7d5, v64
	v_fma_f32 v64, 0xbf59a7d5, v22, -v64
	v_add_f32_e32 v15, v15, v54
	v_fmamk_f32 v79, v22, 0xbf7ba420, v18
	v_fma_f32 v18, 0xbf7ba420, v22, -v18
	v_add_f32_e32 v63, v71, v63
	v_add_f32_e32 v61, v67, v61
	;; [unrolled: 1-line block ×3, first 2 shown]
	v_fmamk_f32 v67, v33, 0xbe8c1d8e, v68
	v_fma_f32 v68, 0xbe8c1d8e, v33, -v68
	v_sub_f32_e32 v14, v59, v14
	v_fmamk_f32 v22, v33, 0x3f3d2fb0, v65
	v_add_f32_e32 v15, v15, v16
	v_fma_f32 v65, 0x3f3d2fb0, v33, -v65
	v_add_f32_e32 v72, v71, v72
	v_add_f32_e32 v34, v71, v34
	;; [unrolled: 1-line block ×9, first 2 shown]
	v_fmamk_f32 v69, v33, 0xbf59a7d5, v70
	v_fma_f32 v70, 0xbf59a7d5, v33, -v70
	v_mul_f32_e32 v57, 0xbf65296c, v14
	v_add_f32_e32 v22, v22, v72
	v_add_f32_e32 v17, v65, v34
	;; [unrolled: 1-line block ×4, first 2 shown]
	v_mul_f32_e32 v70, 0x3f65296c, v19
	v_mul_f32_e32 v19, 0x3eb8f4ab, v19
	v_add_f32_e32 v74, v71, v74
	v_add_f32_e32 v75, v71, v75
	;; [unrolled: 1-line block ×3, first 2 shown]
	v_fmamk_f32 v59, v33, 0x3ee437d1, v70
	v_fma_f32 v68, 0x3ee437d1, v33, -v70
	v_fmamk_f32 v70, v33, 0x3f6eb680, v19
	v_fma_f32 v19, 0x3f6eb680, v33, -v19
	v_add_f32_e32 v77, v71, v77
	v_add_f32_e32 v78, v71, v78
	;; [unrolled: 1-line block ×4, first 2 shown]
	v_fmamk_f32 v68, v16, 0x3ee437d1, v57
	v_mul_f32_e32 v70, 0xbf4c4adb, v14
	v_add_f32_e32 v18, v19, v18
	v_fma_f32 v19, 0x3ee437d1, v16, -v57
	v_mul_f32_e32 v57, 0x3e3c28d5, v14
	v_add_f32_e32 v22, v68, v22
	v_fmamk_f32 v68, v16, 0xbf1a4643, v70
	v_fma_f32 v70, 0xbf1a4643, v16, -v70
	v_add_f32_e32 v17, v19, v17
	v_fmamk_f32 v19, v16, 0xbf7ba420, v57
	v_mul_f32_e32 v71, 0x3f763a35, v14
	v_fma_f32 v57, 0xbf7ba420, v16, -v57
	v_add_f32_e32 v34, v80, v73
	v_add_f32_e32 v65, v81, v74
	;; [unrolled: 1-line block ×3, first 2 shown]
	v_fma_f32 v70, 0xbe8c1d8e, v16, -v71
	v_add_f32_e32 v57, v57, v60
	v_mul_f32_e32 v60, 0xbeb8f4ab, v14
	v_add_f32_e32 v66, v66, v75
	v_add_f32_e32 v34, v68, v34
	;; [unrolled: 1-line block ×3, first 2 shown]
	v_fmamk_f32 v65, v16, 0xbe8c1d8e, v71
	v_mul_f32_e32 v68, 0x3f2c7751, v14
	v_add_f32_e32 v61, v70, v61
	v_fmamk_f32 v70, v16, 0x3f6eb680, v60
	v_mul_f32_e32 v71, 0xbf7ee86f, v14
	v_fma_f32 v60, 0x3f6eb680, v16, -v60
	v_mul_f32_e32 v14, 0xbf06c442, v14
	v_sub_f32_e32 v12, v56, v12
	v_add_f32_e32 v65, v65, v66
	v_fmamk_f32 v66, v16, 0x3f3d2fb0, v68
	v_fma_f32 v68, 0x3f3d2fb0, v16, -v68
	v_add_f32_e32 v60, v60, v63
	v_fma_f32 v56, 0x3dbcf732, v16, -v71
	v_fmamk_f32 v63, v16, 0xbf59a7d5, v14
	v_add_f32_e32 v13, v55, v13
	v_mul_f32_e32 v55, 0xbf7ee86f, v12
	v_add_f32_e32 v62, v68, v62
	v_fmamk_f32 v68, v16, 0x3dbcf732, v71
	v_add_f32_e32 v33, v56, v33
	v_fma_f32 v14, 0xbf59a7d5, v16, -v14
	v_add_f32_e32 v16, v63, v64
	v_mul_f32_e32 v56, 0xbe3c28d5, v12
	v_fmamk_f32 v63, v13, 0x3dbcf732, v55
	v_fma_f32 v55, 0x3dbcf732, v13, -v55
	v_add_f32_e32 v14, v14, v18
	v_mul_f32_e32 v18, 0x3f763a35, v12
	v_fmamk_f32 v64, v13, 0xbf7ba420, v56
	v_add_f32_e32 v22, v63, v22
	v_add_f32_e32 v17, v55, v17
	v_fma_f32 v55, 0xbf7ba420, v13, -v56
	v_fmamk_f32 v56, v13, 0xbe8c1d8e, v18
	v_add_f32_e32 v34, v64, v34
	v_mul_f32_e32 v63, 0x3eb8f4ab, v12
	v_fma_f32 v18, 0xbe8c1d8e, v13, -v18
	v_add_f32_e32 v35, v55, v35
	v_mul_f32_e32 v55, 0xbf65296c, v12
	v_add_f32_e32 v59, v59, v78
	v_add_f32_e32 v19, v56, v19
	v_fmamk_f32 v56, v13, 0x3f6eb680, v63
	v_add_f32_e32 v18, v18, v57
	v_fmamk_f32 v64, v13, 0x3ee437d1, v55
	v_fma_f32 v55, 0x3ee437d1, v13, -v55
	v_fma_f32 v57, 0x3f6eb680, v13, -v63
	v_mul_f32_e32 v63, 0xbf06c442, v12
	v_sub_f32_e32 v23, v53, v23
	v_add_f32_e32 v59, v68, v59
	v_add_f32_e32 v55, v55, v62
	v_mul_f32_e32 v62, 0x3f4c4adb, v12
	v_add_f32_e32 v57, v57, v61
	v_fmamk_f32 v61, v13, 0xbf59a7d5, v63
	v_fma_f32 v63, 0xbf59a7d5, v13, -v63
	v_mul_f32_e32 v12, 0x3f2c7751, v12
	v_fmamk_f32 v53, v13, 0xbf1a4643, v62
	v_fma_f32 v62, 0xbf1a4643, v13, -v62
	v_add_f32_e32 v52, v52, v54
	v_mul_f32_e32 v54, 0xbf763a35, v23
	v_add_f32_e32 v60, v63, v60
	v_fmamk_f32 v63, v13, 0x3f3d2fb0, v12
	v_add_f32_e32 v53, v53, v59
	v_fma_f32 v12, 0x3f3d2fb0, v13, -v12
	v_add_f32_e32 v13, v62, v33
	v_fmamk_f32 v33, v52, 0xbe8c1d8e, v54
	v_mul_f32_e32 v59, 0x3f06c442, v23
	v_add_f32_e32 v67, v67, v77
	v_add_f32_e32 v12, v12, v14
	v_fma_f32 v14, 0xbe8c1d8e, v52, -v54
	v_mul_f32_e32 v54, 0x3f2c7751, v23
	v_add_f32_e32 v22, v33, v22
	v_fmamk_f32 v33, v52, 0xbf59a7d5, v59
	v_fma_f32 v59, 0xbf59a7d5, v52, -v59
	v_add_f32_e32 v14, v14, v17
	v_fmamk_f32 v17, v52, 0x3f3d2fb0, v54
	v_mul_f32_e32 v62, 0xbf65296c, v23
	v_add_f32_e32 v33, v33, v34
	v_add_f32_e32 v34, v59, v35
	v_fma_f32 v35, 0x3f3d2fb0, v52, -v54
	v_add_f32_e32 v67, v70, v67
	v_add_f32_e32 v56, v56, v65
	;; [unrolled: 1-line block ×3, first 2 shown]
	v_fmamk_f32 v19, v52, 0x3ee437d1, v62
	v_mul_f32_e32 v54, 0xbe3c28d5, v23
	v_fma_f32 v59, 0x3ee437d1, v52, -v62
	v_add_f32_e32 v18, v35, v18
	v_mul_f32_e32 v35, 0x3f7ee86f, v23
	v_add_f32_e32 v61, v61, v67
	v_add_f32_e32 v19, v19, v56
	v_fmamk_f32 v56, v52, 0xbf7ba420, v54
	v_add_f32_e32 v57, v59, v57
	v_fma_f32 v54, 0xbf7ba420, v52, -v54
	v_fmamk_f32 v59, v52, 0x3dbcf732, v35
	v_mul_f32_e32 v62, 0xbeb8f4ab, v23
	v_sub_f32_e32 v11, v51, v11
	v_mul_f32_e32 v23, 0xbf4c4adb, v23
	v_add_f32_e32 v54, v54, v55
	v_add_f32_e32 v55, v59, v61
	v_fmamk_f32 v59, v52, 0x3f6eb680, v62
	v_fma_f32 v51, 0x3f6eb680, v52, -v62
	v_add_f32_e32 v29, v50, v29
	v_mul_f32_e32 v50, 0xbf4c4adb, v11
	v_fma_f32 v35, 0x3dbcf732, v52, -v35
	v_add_f32_e32 v53, v59, v53
	v_fmamk_f32 v59, v52, 0xbf1a4643, v23
	v_add_f32_e32 v13, v51, v13
	v_fma_f32 v23, 0xbf1a4643, v52, -v23
	v_mul_f32_e32 v51, 0x3f763a35, v11
	v_fmamk_f32 v52, v29, 0xbf1a4643, v50
	v_fma_f32 v50, 0xbf1a4643, v29, -v50
	v_add_f32_e32 v16, v63, v16
	v_add_f32_e32 v12, v23, v12
	v_mul_f32_e32 v23, 0xbeb8f4ab, v11
	v_add_f32_e32 v22, v52, v22
	v_add_f32_e32 v14, v50, v14
	v_fma_f32 v50, 0xbe8c1d8e, v29, -v51
	v_add_f32_e32 v16, v59, v16
	v_fmamk_f32 v59, v29, 0xbe8c1d8e, v51
	v_fmamk_f32 v51, v29, 0x3f6eb680, v23
	v_mul_f32_e32 v52, 0xbf06c442, v11
	v_fma_f32 v23, 0x3f6eb680, v29, -v23
	v_add_f32_e32 v34, v50, v34
	v_mul_f32_e32 v50, 0x3f7ee86f, v11
	v_add_f32_e32 v33, v59, v33
	v_add_f32_e32 v17, v51, v17
	v_fmamk_f32 v51, v29, 0xbf59a7d5, v52
	v_add_f32_e32 v18, v23, v18
	v_fma_f32 v23, 0xbf59a7d5, v29, -v52
	v_mul_f32_e32 v52, 0xbf2c7751, v11
	v_fmamk_f32 v59, v29, 0x3dbcf732, v50
	v_fma_f32 v50, 0x3dbcf732, v29, -v50
	v_add_f32_e32 v35, v35, v60
	v_add_f32_e32 v19, v51, v19
	v_fmamk_f32 v51, v29, 0x3f3d2fb0, v52
	v_fma_f32 v52, 0x3f3d2fb0, v29, -v52
	v_add_f32_e32 v50, v50, v54
	v_mul_f32_e32 v54, 0xbe3c28d5, v11
	v_sub_f32_e32 v47, v47, v49
	v_mul_f32_e32 v11, 0x3f65296c, v11
	v_add_f32_e32 v35, v52, v35
	v_add_f32_e32 v46, v46, v48
	v_fma_f32 v52, 0xbf7ba420, v29, -v54
	v_mul_f32_e32 v48, 0xbf06c442, v47
	v_fmamk_f32 v49, v29, 0xbf7ba420, v54
	v_fmamk_f32 v54, v29, 0x3ee437d1, v11
	v_fma_f32 v11, 0x3ee437d1, v29, -v11
	v_add_f32_e32 v13, v52, v13
	v_fmamk_f32 v29, v46, 0xbf59a7d5, v48
	v_mul_f32_e32 v52, 0x3f65296c, v47
	v_add_f32_e32 v49, v49, v53
	v_add_f32_e32 v11, v11, v12
	v_fma_f32 v12, 0xbf59a7d5, v46, -v48
	v_mul_f32_e32 v48, 0xbf7ee86f, v47
	v_add_f32_e32 v22, v29, v22
	v_fmamk_f32 v29, v46, 0x3ee437d1, v52
	v_fma_f32 v52, 0x3ee437d1, v46, -v52
	v_add_f32_e32 v12, v12, v14
	v_fmamk_f32 v14, v46, 0x3dbcf732, v48
	v_mul_f32_e32 v53, 0x3f4c4adb, v47
	v_add_f32_e32 v29, v29, v33
	v_fma_f32 v33, 0x3dbcf732, v46, -v48
	v_add_f32_e32 v23, v23, v57
	v_add_f32_e32 v34, v52, v34
	;; [unrolled: 1-line block ×3, first 2 shown]
	v_fmamk_f32 v17, v46, 0xbf1a4643, v53
	v_mul_f32_e32 v48, 0xbeb8f4ab, v47
	v_fma_f32 v52, 0xbf1a4643, v46, -v53
	v_add_f32_e32 v18, v33, v18
	v_mul_f32_e32 v33, 0xbe3c28d5, v47
	v_add_f32_e32 v51, v51, v55
	v_add_f32_e32 v17, v17, v19
	v_fmamk_f32 v19, v46, 0x3f6eb680, v48
	v_add_f32_e32 v23, v52, v23
	v_fma_f32 v48, 0x3f6eb680, v46, -v48
	v_fmamk_f32 v52, v46, 0xbf7ba420, v33
	v_mul_f32_e32 v53, 0x3f2c7751, v47
	v_fma_f32 v33, 0xbf7ba420, v46, -v33
	v_mul_f32_e32 v47, 0xbf763a35, v47
	v_add_f32_e32 v69, v69, v76
	v_sub_f32_e32 v43, v43, v44
	v_add_f32_e32 v16, v54, v16
	v_add_f32_e32 v48, v48, v50
	;; [unrolled: 1-line block ×4, first 2 shown]
	v_fmamk_f32 v35, v46, 0xbe8c1d8e, v47
	v_add_f32_e32 v66, v66, v69
	v_fma_f32 v33, 0x3f3d2fb0, v46, -v53
	v_add_f32_e32 v45, v42, v45
	v_mul_f32_e32 v42, 0xbe3c28d5, v43
	v_fmamk_f32 v51, v46, 0x3f3d2fb0, v53
	v_add_f32_e32 v16, v35, v16
	v_mul_f32_e32 v35, 0x3eb8f4ab, v43
	v_add_f32_e32 v64, v64, v66
	v_add_f32_e32 v13, v33, v13
	v_fma_f32 v33, 0xbe8c1d8e, v46, -v47
	v_fmamk_f32 v46, v45, 0xbf7ba420, v42
	v_fma_f32 v42, 0xbf7ba420, v45, -v42
	v_mul_f32_e32 v47, 0xbf06c442, v43
	v_add_f32_e32 v44, v51, v49
	v_fmamk_f32 v49, v45, 0x3f6eb680, v35
	v_add_f32_e32 v56, v56, v64
	v_add_f32_e32 v11, v33, v11
	;; [unrolled: 1-line block ×3, first 2 shown]
	v_fma_f32 v12, 0x3f6eb680, v45, -v35
	v_fmamk_f32 v35, v45, 0xbf59a7d5, v47
	v_add_f32_e32 v22, v46, v22
	v_add_f32_e32 v46, v49, v29
	v_mul_f32_e32 v29, 0x3f2c7751, v43
	v_fma_f32 v42, 0xbf59a7d5, v45, -v47
	v_add_f32_e32 v56, v59, v56
	v_add_f32_e32 v34, v12, v34
	;; [unrolled: 1-line block ×3, first 2 shown]
	v_mul_f32_e32 v14, 0xbf4c4adb, v43
	v_add_f32_e32 v35, v42, v18
	v_fma_f32 v18, 0x3f3d2fb0, v45, -v29
	v_add_f32_e32 v19, v19, v56
	v_fmamk_f32 v47, v45, 0x3f3d2fb0, v29
	v_fmamk_f32 v29, v45, 0xbf1a4643, v14
	v_fma_f32 v14, 0xbf1a4643, v45, -v14
	v_mul_f32_e32 v49, 0x3f65296c, v43
	v_add_f32_e32 v42, v18, v23
	v_mul_f32_e32 v23, 0xbf763a35, v43
	v_add_f32_e32 v19, v29, v19
	v_add_f32_e32 v29, v14, v48
	v_mul_f32_e32 v14, 0x3f7ee86f, v43
	v_add_f32_e32 v17, v47, v17
	v_fmamk_f32 v18, v45, 0x3ee437d1, v49
	v_fmamk_f32 v47, v45, 0xbe8c1d8e, v23
	v_fma_f32 v43, 0x3ee437d1, v45, -v49
	v_fmamk_f32 v48, v45, 0x3dbcf732, v14
	v_fma_f32 v14, 0x3dbcf732, v45, -v14
	v_fma_f32 v23, 0xbe8c1d8e, v45, -v23
	v_add_f32_e32 v18, v18, v50
	v_add_f32_e32 v44, v47, v44
	;; [unrolled: 1-line block ×6, first 2 shown]
	s_waitcnt lgkmcnt(0)
	s_barrier
	buffer_gl0_inv
	ds_write2_b32 v10, v15, v22 offset1:17
	ds_write2_b32 v10, v46, v12 offset0:34 offset1:51
	ds_write2_b32 v10, v17, v19 offset0:68 offset1:85
	;; [unrolled: 1-line block ×7, first 2 shown]
	ds_write_b32 v10, v33 offset:1088
	v_add_nc_u32_e32 v10, 0x400, v58
	v_add_nc_u32_e32 v11, 0x800, v58
	;; [unrolled: 1-line block ×5, first 2 shown]
	s_waitcnt lgkmcnt(0)
	s_barrier
	buffer_gl0_inv
	ds_read2_b32 v[14:15], v10 offset0:33 offset1:135
	ds_read2_b32 v[22:23], v11 offset0:66 offset1:168
	;; [unrolled: 1-line block ×5, first 2 shown]
	ds_read_b32 v43, v58
	ds_read_b32 v44, v41
                                        ; implicit-def: $vgpr41
	s_and_saveexec_b32 s1, s0
	s_cbranch_execz .LBB0_17
; %bb.16:
	ds_read_b32 v29, v40
	ds_read_b32 v42, v58 offset:1972
	ds_read_b32 v35, v58 offset:3128
	ds_read_b32 v34, v58 offset:4284
	ds_read_b32 v33, v58 offset:5440
	ds_read_b32 v41, v58 offset:6596
.LBB0_17:
	s_or_b32 exec_lo, exec_lo, s1
	s_and_saveexec_b32 s1, vcc_lo
	s_cbranch_execz .LBB0_20
; %bb.18:
	v_mul_i32_i24_e32 v10, 5, v39
	v_mov_b32_e32 v11, 0
	v_mul_u32_u24_e32 v45, 5, v36
	v_mad_u64_u32 v[63:64], null, s2, v36, 0
	v_add_nc_u32_e32 v90, 0x121, v36
	v_lshlrev_b64 v[39:40], 3, v[10:11]
	v_lshlrev_b32_e32 v10, 3, v45
	v_add_nc_u32_e32 v91, 0x242, v36
	v_add_nc_u32_e32 v92, 0x363, v36
	;; [unrolled: 1-line block ×4, first 2 shown]
	v_add_co_u32 v49, vcc_lo, s8, v39
	v_add_co_ci_u32_e32 v50, vcc_lo, s9, v40, vcc_lo
	v_add_co_u32 v10, s1, s8, v10
	v_add_co_ci_u32_e64 v47, null, s9, 0, s1
	v_add_co_u32 v39, vcc_lo, 0x800, v49
	v_add_co_ci_u32_e32 v40, vcc_lo, 0, v50, vcc_lo
	v_add_co_u32 v45, vcc_lo, 0x800, v10
	v_add_co_ci_u32_e32 v46, vcc_lo, 0, v47, vcc_lo
	v_add_co_u32 v57, vcc_lo, 0x880, v10
	v_add_co_ci_u32_e32 v58, vcc_lo, 0, v47, vcc_lo
	v_add_co_u32 v59, vcc_lo, 0x880, v49
	v_add_co_ci_u32_e32 v60, vcc_lo, 0, v50, vcc_lo
	s_clause 0x5
	global_load_dwordx4 v[45:48], v[45:46], off offset:128
	global_load_dwordx2 v[61:62], v[57:58], off offset:32
	global_load_dwordx4 v[49:52], v[39:40], off offset:128
	global_load_dwordx4 v[53:56], v[59:60], off offset:16
	global_load_dwordx2 v[39:40], v[59:60], off offset:32
	global_load_dwordx4 v[57:60], v[57:58], off offset:16
	v_mad_u64_u32 v[65:66], null, s2, v38, 0
	v_add_nc_u32_e32 v95, 0x187, v36
	v_mad_u64_u32 v[67:68], null, s2, v90, 0
	v_mad_u64_u32 v[69:70], null, s2, v91, 0
	v_add_nc_u32_e32 v96, 0x2a8, v36
	v_mad_u64_u32 v[71:72], null, s2, v92, 0
	v_mad_u64_u32 v[73:74], null, s2, v93, 0
	v_mov_b32_e32 v10, v64
	v_mad_u64_u32 v[75:76], null, s2, v94, 0
	v_mad_u64_u32 v[77:78], null, s2, v95, 0
	v_add_nc_u32_e32 v97, 0x3c9, v36
	v_add_nc_u32_e32 v98, 0x4ea, v36
	v_mad_u64_u32 v[79:80], null, s2, v96, 0
	v_mov_b32_e32 v64, v66
	v_add_nc_u32_e32 v99, 0x60b, v36
	v_mad_u64_u32 v[87:88], null, s3, v36, v[10:11]
	v_mov_b32_e32 v10, v68
	v_mov_b32_e32 v66, v70
	;; [unrolled: 1-line block ×4, first 2 shown]
	v_mad_u64_u32 v[81:82], null, s2, v97, 0
	v_mad_u64_u32 v[83:84], null, s2, v98, 0
	v_mov_b32_e32 v72, v76
	v_mad_u64_u32 v[88:89], null, s3, v38, v[64:65]
	v_mad_u64_u32 v[85:86], null, s2, v99, 0
	v_mov_b32_e32 v38, v78
	;; [unrolled: 3-line block ×3, first 2 shown]
	v_mad_u64_u32 v[91:92], null, s3, v92, v[68:69]
	v_mad_u64_u32 v[92:93], null, s3, v93, v[70:71]
	;; [unrolled: 1-line block ×3, first 2 shown]
	v_mov_b32_e32 v74, v82
	v_mov_b32_e32 v76, v84
	;; [unrolled: 1-line block ×4, first 2 shown]
	v_add_co_u32 v20, vcc_lo, s12, v20
	v_mov_b32_e32 v68, v89
	v_mov_b32_e32 v70, v90
	;; [unrolled: 1-line block ×3, first 2 shown]
	v_add_co_ci_u32_e32 v21, vcc_lo, s13, v21, vcc_lo
	v_lshlrev_b64 v[67:68], 3, v[67:68]
	v_lshlrev_b64 v[69:70], 3, v[69:70]
	;; [unrolled: 1-line block ×3, first 2 shown]
	s_waitcnt vmcnt(3) lgkmcnt(5)
	v_mul_f32_e32 v88, v23, v52
	s_waitcnt vmcnt(2) lgkmcnt(3)
	v_mul_f32_e32 v89, v17, v56
	s_waitcnt vmcnt(1)
	v_mad_u64_u32 v[94:95], null, s3, v95, v[38:39]
	v_mad_u64_u32 v[95:96], null, s3, v96, v[64:65]
	v_mov_b32_e32 v64, v87
	v_mad_u64_u32 v[96:97], null, s3, v97, v[74:75]
	v_mad_u64_u32 v[86:87], null, s3, v98, v[76:77]
	v_lshlrev_b64 v[63:64], 3, v[63:64]
	v_mad_u64_u32 v[97:98], null, s3, v99, v[78:79]
	v_mov_b32_e32 v74, v92
	v_mov_b32_e32 v78, v94
	v_mul_f32_e32 v10, v22, v48
	s_waitcnt lgkmcnt(2)
	v_mul_f32_e32 v87, v18, v62
	v_mul_f32_e32 v62, v6, v62
	;; [unrolled: 1-line block ×9, first 2 shown]
	s_waitcnt vmcnt(0)
	v_mul_f32_e32 v94, v12, v58
	v_mul_f32_e32 v58, v0, v58
	;; [unrolled: 1-line block ×3, first 2 shown]
	v_lshlrev_b64 v[65:66], 3, v[65:66]
	v_mov_b32_e32 v76, v93
	v_add_co_u32 v63, vcc_lo, v20, v63
	v_mul_f32_e32 v38, v8, v48
	v_mul_f32_e32 v48, v14, v46
	;; [unrolled: 1-line block ×5, first 2 shown]
	v_fma_f32 v8, v8, v47, -v10
	v_fma_f32 v6, v6, v61, -v87
	v_fmac_f32_e32 v62, v18, v61
	v_fma_f32 v9, v9, v51, -v88
	v_fma_f32 v3, v3, v55, -v89
	v_fmac_f32_e32 v52, v23, v51
	v_fmac_f32_e32 v56, v17, v55
	v_fma_f32 v5, v5, v49, -v90
	v_fma_f32 v1, v1, v53, -v91
	;; [unrolled: 1-line block ×3, first 2 shown]
	v_fmac_f32_e32 v54, v13, v53
	v_fmac_f32_e32 v50, v15, v49
	v_fma_f32 v0, v0, v57, -v94
	v_fmac_f32_e32 v58, v12, v57
	v_fmac_f32_e32 v40, v19, v39
	v_add_co_ci_u32_e32 v64, vcc_lo, v21, v64, vcc_lo
	v_add_co_u32 v65, vcc_lo, v20, v65
	v_add_co_ci_u32_e32 v66, vcc_lo, v21, v66, vcc_lo
	v_fmac_f32_e32 v38, v22, v47
	v_fma_f32 v4, v4, v45, -v48
	v_fmac_f32_e32 v46, v14, v45
	v_fma_f32 v2, v2, v59, -v93
	v_fmac_f32_e32 v60, v16, v59
	v_add_f32_e32 v12, v31, v8
	v_sub_f32_e32 v13, v9, v3
	v_add_f32_e32 v14, v52, v56
	v_add_f32_e32 v15, v1, v7
	v_sub_f32_e32 v17, v1, v7
	s_waitcnt lgkmcnt(0)
	v_add_f32_e32 v19, v44, v52
	v_add_f32_e32 v22, v50, v54
	;; [unrolled: 1-line block ×3, first 2 shown]
	v_sub_f32_e32 v39, v52, v56
	v_add_f32_e32 v9, v32, v9
	v_add_f32_e32 v1, v5, v1
	;; [unrolled: 1-line block ×4, first 2 shown]
	v_add_co_u32 v67, vcc_lo, v20, v67
	v_add_f32_e32 v18, v54, v40
	v_add_co_ci_u32_e32 v68, vcc_lo, v21, v68, vcc_lo
	v_lshlrev_b64 v[73:74], 3, v[73:74]
	v_add_co_u32 v69, vcc_lo, v20, v69
	v_sub_f32_e32 v45, v8, v2
	v_add_f32_e32 v47, v38, v60
	v_sub_f32_e32 v49, v58, v62
	v_sub_f32_e32 v51, v0, v6
	v_add_f32_e32 v8, v8, v2
	v_add_f32_e32 v0, v4, v0
	;; [unrolled: 1-line block ×3, first 2 shown]
	v_fma_f32 v14, -0.5, v14, v44
	v_fma_f32 v15, -0.5, v15, v5
	v_add_f32_e32 v2, v19, v56
	v_add_f32_e32 v5, v22, v40
	v_fma_f32 v19, -0.5, v23, v32
	v_add_f32_e32 v9, v9, v3
	v_add_f32_e32 v7, v1, v7
	v_fma_f32 v22, -0.5, v48, v4
	v_fma_f32 v23, -0.5, v52, v46
	v_add_co_ci_u32_e32 v70, vcc_lo, v21, v70, vcc_lo
	v_add_f32_e32 v10, v43, v38
	v_sub_f32_e32 v16, v54, v40
	v_add_f32_e32 v53, v46, v58
	v_fma_f32 v18, -0.5, v18, v50
	v_lshlrev_b64 v[75:76], 3, v[75:76]
	v_add_co_u32 v71, vcc_lo, v20, v71
	v_mov_b32_e32 v80, v95
	v_add_co_ci_u32_e32 v72, vcc_lo, v21, v72, vcc_lo
	v_lshlrev_b64 v[77:78], 3, v[77:78]
	v_add_co_u32 v73, vcc_lo, v20, v73
	v_fma_f32 v32, -0.5, v47, v43
	v_add_f32_e32 v6, v0, v6
	v_fmamk_f32 v43, v13, 0x3f5db3d7, v14
	v_fmac_f32_e32 v14, 0xbf5db3d7, v13
	v_sub_f32_e32 v1, v2, v5
	v_sub_f32_e32 v0, v9, v7
	v_add_f32_e32 v3, v2, v5
	v_add_f32_e32 v2, v9, v7
	v_fmamk_f32 v9, v49, 0xbf5db3d7, v22
	v_fmamk_f32 v13, v51, 0x3f5db3d7, v23
	v_fmac_f32_e32 v23, 0xbf5db3d7, v51
	v_fmac_f32_e32 v22, 0x3f5db3d7, v49
	v_mov_b32_e32 v82, v96
	v_sub_f32_e32 v38, v38, v60
	v_add_f32_e32 v10, v10, v60
	v_add_f32_e32 v40, v53, v62
	v_fma_f32 v31, -0.5, v8, v31
	v_fmamk_f32 v8, v16, 0xbf5db3d7, v15
	v_fmamk_f32 v44, v17, 0x3f5db3d7, v18
	v_fmac_f32_e32 v18, 0xbf5db3d7, v17
	v_fmac_f32_e32 v15, 0x3f5db3d7, v16
	v_add_co_ci_u32_e32 v74, vcc_lo, v21, v74, vcc_lo
	v_lshlrev_b64 v[79:80], 3, v[79:80]
	v_add_co_u32 v75, vcc_lo, v20, v75
	v_mov_b32_e32 v84, v86
	v_add_co_ci_u32_e32 v76, vcc_lo, v21, v76, vcc_lo
	v_mul_f32_e32 v46, 0xbf5db3d7, v22
	v_mul_f32_e32 v48, 0x3f5db3d7, v23
	v_lshlrev_b64 v[81:82], 3, v[81:82]
	v_add_co_u32 v77, vcc_lo, v20, v77
	v_fmamk_f32 v16, v39, 0xbf5db3d7, v19
	v_fmac_f32_e32 v19, 0x3f5db3d7, v39
	v_fmamk_f32 v39, v45, 0x3f5db3d7, v32
	v_fmac_f32_e32 v32, 0xbf5db3d7, v45
	v_sub_f32_e32 v5, v10, v40
	v_fmamk_f32 v45, v38, 0xbf5db3d7, v31
	v_fmac_f32_e32 v31, 0x3f5db3d7, v38
	v_sub_f32_e32 v4, v12, v6
	v_add_f32_e32 v7, v10, v40
	v_add_f32_e32 v6, v12, v6
	v_mul_f32_e32 v12, 0xbf5db3d7, v15
	v_mul_f32_e32 v38, 0x3f5db3d7, v18
	v_mul_f32_e32 v40, -0.5, v13
	v_mul_f32_e32 v47, -0.5, v9
	v_mov_b32_e32 v86, v97
	v_add_co_ci_u32_e32 v78, vcc_lo, v21, v78, vcc_lo
	v_lshlrev_b64 v[83:84], 3, v[83:84]
	v_add_co_u32 v79, vcc_lo, v20, v79
	v_mul_f32_e32 v17, -0.5, v8
	v_mul_f32_e32 v10, -0.5, v44
	v_fmac_f32_e32 v46, 0.5, v23
	v_fmac_f32_e32 v48, 0.5, v22
	v_add_co_ci_u32_e32 v80, vcc_lo, v21, v80, vcc_lo
	v_fmac_f32_e32 v12, 0.5, v18
	v_fmac_f32_e32 v38, 0.5, v15
	v_fmac_f32_e32 v40, 0xbf5db3d7, v9
	v_fmac_f32_e32 v47, 0x3f5db3d7, v13
	v_lshlrev_b64 v[85:86], 3, v[85:86]
	v_add_co_u32 v81, vcc_lo, v20, v81
	v_add_co_ci_u32_e32 v82, vcc_lo, v21, v82, vcc_lo
	v_fmac_f32_e32 v17, 0x3f5db3d7, v44
	v_add_co_u32 v83, vcc_lo, v20, v83
	v_fmac_f32_e32 v10, 0xbf5db3d7, v8
	v_add_f32_e32 v23, v32, v46
	v_add_f32_e32 v22, v31, v48
	v_sub_f32_e32 v9, v14, v12
	v_sub_f32_e32 v8, v19, v38
	v_add_f32_e32 v15, v14, v12
	v_add_f32_e32 v14, v19, v38
	;; [unrolled: 1-line block ×4, first 2 shown]
	v_add_co_ci_u32_e32 v84, vcc_lo, v21, v84, vcc_lo
	v_add_co_u32 v85, vcc_lo, v20, v85
	v_sub_f32_e32 v32, v32, v46
	v_sub_f32_e32 v31, v31, v48
	global_store_dwordx2 v[63:64], v[6:7], off
	v_sub_f32_e32 v6, v16, v17
	v_add_f32_e32 v12, v16, v17
	v_sub_f32_e32 v17, v39, v40
	v_sub_f32_e32 v16, v45, v47
	v_add_co_ci_u32_e32 v86, vcc_lo, v21, v86, vcc_lo
	v_sub_f32_e32 v7, v43, v10
	v_add_f32_e32 v13, v43, v10
	global_store_dwordx2 v[67:68], v[22:23], off
	global_store_dwordx2 v[69:70], v[18:19], off
	;; [unrolled: 1-line block ×11, first 2 shown]
	s_and_b32 exec_lo, exec_lo, s0
	s_cbranch_execz .LBB0_20
; %bb.19:
	v_add_nc_u32_e32 v0, 0xffffffab, v36
	v_add_nc_u32_e32 v31, 0xcc, v36
	;; [unrolled: 1-line block ×5, first 2 shown]
	v_cndmask_b32_e64 v0, v0, v37, s0
	v_add_nc_u32_e32 v37, 0x1ed, v36
	v_mad_u64_u32 v[14:15], null, s2, v38, 0
	v_mad_u64_u32 v[16:17], null, s2, v39, 0
	v_mul_i32_i24_e32 v10, 5, v0
	v_mad_u64_u32 v[12:13], null, s2, v37, 0
	v_mad_u64_u32 v[18:19], null, s2, v40, 0
	v_lshlrev_b64 v[0:1], 3, v[10:11]
	v_mad_u64_u32 v[10:11], null, s2, v31, 0
	v_add_nc_u32_e32 v43, 0x671, v36
	v_mad_u64_u32 v[36:37], null, s3, v37, v[13:14]
	v_add_co_u32 v2, vcc_lo, s8, v0
	v_add_co_ci_u32_e32 v3, vcc_lo, s9, v1, vcc_lo
	v_mad_u64_u32 v[31:32], null, s3, v31, v[11:12]
	v_add_co_u32 v0, vcc_lo, 0x800, v2
	v_add_co_ci_u32_e32 v1, vcc_lo, 0, v3, vcc_lo
	v_add_co_u32 v8, vcc_lo, 0x880, v2
	v_add_co_ci_u32_e32 v9, vcc_lo, 0, v3, vcc_lo
	s_clause 0x2
	global_load_dwordx4 v[0:3], v[0:1], off offset:128
	global_load_dwordx4 v[4:7], v[8:9], off offset:16
	global_load_dwordx2 v[8:9], v[8:9], off offset:32
	v_mad_u64_u32 v[37:38], null, s3, v38, v[15:16]
	v_mad_u64_u32 v[22:23], null, s2, v43, 0
	v_mov_b32_e32 v11, v31
	v_mad_u64_u32 v[38:39], null, s3, v39, v[17:18]
	v_mov_b32_e32 v13, v36
	v_mad_u64_u32 v[39:40], null, s3, v40, v[19:20]
	v_lshlrev_b64 v[10:11], 3, v[10:11]
	v_mov_b32_e32 v15, v37
	v_mad_u64_u32 v[43:44], null, s3, v43, v[23:24]
	v_lshlrev_b64 v[12:13], 3, v[12:13]
	v_mov_b32_e32 v17, v38
	v_lshlrev_b64 v[14:15], 3, v[14:15]
	v_add_co_u32 v10, vcc_lo, v20, v10
	v_mov_b32_e32 v19, v39
	v_add_co_ci_u32_e32 v11, vcc_lo, v21, v11, vcc_lo
	v_lshlrev_b64 v[16:17], 3, v[16:17]
	v_add_co_u32 v12, vcc_lo, v20, v12
	v_mov_b32_e32 v23, v43
	v_add_co_ci_u32_e32 v13, vcc_lo, v21, v13, vcc_lo
	v_lshlrev_b64 v[18:19], 3, v[18:19]
	v_add_co_u32 v14, vcc_lo, v20, v14
	v_add_co_ci_u32_e32 v15, vcc_lo, v21, v15, vcc_lo
	v_lshlrev_b64 v[22:23], 3, v[22:23]
	v_add_co_u32 v16, vcc_lo, v20, v16
	v_add_co_ci_u32_e32 v17, vcc_lo, v21, v17, vcc_lo
	v_add_co_u32 v18, vcc_lo, v20, v18
	v_add_co_ci_u32_e32 v19, vcc_lo, v21, v19, vcc_lo
	;; [unrolled: 2-line block ×3, first 2 shown]
	s_waitcnt vmcnt(2)
	v_mul_f32_e32 v22, v42, v1
	v_mul_f32_e32 v23, v28, v1
	;; [unrolled: 1-line block ×3, first 2 shown]
	s_waitcnt vmcnt(1)
	v_mul_f32_e32 v31, v34, v5
	v_mul_f32_e32 v5, v26, v5
	s_waitcnt vmcnt(0)
	v_mul_f32_e32 v36, v41, v9
	v_mul_f32_e32 v9, v30, v9
	;; [unrolled: 1-line block ×4, first 2 shown]
	v_fma_f32 v22, v28, v0, -v22
	v_fmac_f32_e32 v23, v42, v0
	v_fma_f32 v0, v27, v2, -v1
	v_fma_f32 v1, v26, v4, -v31
	v_fmac_f32_e32 v5, v34, v4
	v_fma_f32 v4, v30, v8, -v36
	v_fmac_f32_e32 v9, v41, v8
	v_mul_f32_e32 v7, v25, v7
	v_fmac_f32_e32 v3, v35, v2
	v_fma_f32 v2, v25, v6, -v32
	v_add_f32_e32 v28, v1, v4
	v_sub_f32_e32 v30, v5, v9
	v_add_f32_e32 v31, v23, v5
	v_add_f32_e32 v5, v5, v9
	v_fmac_f32_e32 v7, v33, v6
	v_add_f32_e32 v8, v0, v2
	v_add_f32_e32 v27, v22, v1
	v_sub_f32_e32 v1, v1, v4
	v_fmac_f32_e32 v22, -0.5, v28
	v_fmac_f32_e32 v23, -0.5, v5
	v_add_f32_e32 v6, v24, v0
	v_sub_f32_e32 v25, v3, v7
	v_add_f32_e32 v26, v29, v3
	v_add_f32_e32 v3, v3, v7
	v_fmac_f32_e32 v24, -0.5, v8
	v_fmamk_f32 v5, v30, 0x3f5db3d7, v22
	v_fmamk_f32 v8, v1, 0xbf5db3d7, v23
	v_fmac_f32_e32 v22, 0xbf5db3d7, v30
	v_fmac_f32_e32 v23, 0x3f5db3d7, v1
	v_sub_f32_e32 v0, v0, v2
	v_add_f32_e32 v2, v6, v2
	v_add_f32_e32 v6, v26, v7
	v_fmac_f32_e32 v29, -0.5, v3
	v_add_f32_e32 v3, v27, v4
	v_add_f32_e32 v4, v31, v9
	v_fmamk_f32 v7, v25, 0x3f5db3d7, v24
	v_fmac_f32_e32 v24, 0xbf5db3d7, v25
	v_mul_f32_e32 v25, 0x3f5db3d7, v8
	v_mul_f32_e32 v27, 0xbf5db3d7, v5
	v_mul_f32_e32 v26, -0.5, v22
	v_mul_f32_e32 v28, -0.5, v23
	v_fmamk_f32 v9, v0, 0xbf5db3d7, v29
	v_fmac_f32_e32 v29, 0x3f5db3d7, v0
	v_add_f32_e32 v0, v2, v3
	v_add_f32_e32 v1, v6, v4
	v_fmac_f32_e32 v25, 0.5, v5
	v_fmac_f32_e32 v27, 0.5, v8
	v_fmac_f32_e32 v26, 0x3f5db3d7, v23
	v_fmac_f32_e32 v28, 0xbf5db3d7, v22
	global_store_dwordx2 v[10:11], v[0:1], off
	v_add_f32_e32 v0, v7, v25
	v_add_f32_e32 v1, v9, v27
	v_sub_f32_e32 v2, v2, v3
	v_sub_f32_e32 v3, v6, v4
	v_add_f32_e32 v4, v24, v26
	v_add_f32_e32 v5, v29, v28
	v_sub_f32_e32 v6, v7, v25
	v_sub_f32_e32 v7, v9, v27
	;; [unrolled: 1-line block ×4, first 2 shown]
	global_store_dwordx2 v[12:13], v[0:1], off
	global_store_dwordx2 v[14:15], v[4:5], off
	;; [unrolled: 1-line block ×5, first 2 shown]
.LBB0_20:
	s_endpgm
	.section	.rodata,"a",@progbits
	.p2align	6, 0x0
	.amdhsa_kernel fft_rtc_fwd_len1734_factors_17_17_6_wgs_102_tpt_102_halfLds_sp_ip_CI_sbrr_dirReg
		.amdhsa_group_segment_fixed_size 0
		.amdhsa_private_segment_fixed_size 0
		.amdhsa_kernarg_size 88
		.amdhsa_user_sgpr_count 6
		.amdhsa_user_sgpr_private_segment_buffer 1
		.amdhsa_user_sgpr_dispatch_ptr 0
		.amdhsa_user_sgpr_queue_ptr 0
		.amdhsa_user_sgpr_kernarg_segment_ptr 1
		.amdhsa_user_sgpr_dispatch_id 0
		.amdhsa_user_sgpr_flat_scratch_init 0
		.amdhsa_user_sgpr_private_segment_size 0
		.amdhsa_wavefront_size32 1
		.amdhsa_uses_dynamic_stack 0
		.amdhsa_system_sgpr_private_segment_wavefront_offset 0
		.amdhsa_system_sgpr_workgroup_id_x 1
		.amdhsa_system_sgpr_workgroup_id_y 0
		.amdhsa_system_sgpr_workgroup_id_z 0
		.amdhsa_system_sgpr_workgroup_info 0
		.amdhsa_system_vgpr_workitem_id 0
		.amdhsa_next_free_vgpr 100
		.amdhsa_next_free_sgpr 23
		.amdhsa_reserve_vcc 1
		.amdhsa_reserve_flat_scratch 0
		.amdhsa_float_round_mode_32 0
		.amdhsa_float_round_mode_16_64 0
		.amdhsa_float_denorm_mode_32 3
		.amdhsa_float_denorm_mode_16_64 3
		.amdhsa_dx10_clamp 1
		.amdhsa_ieee_mode 1
		.amdhsa_fp16_overflow 0
		.amdhsa_workgroup_processor_mode 1
		.amdhsa_memory_ordered 1
		.amdhsa_forward_progress 0
		.amdhsa_shared_vgpr_count 0
		.amdhsa_exception_fp_ieee_invalid_op 0
		.amdhsa_exception_fp_denorm_src 0
		.amdhsa_exception_fp_ieee_div_zero 0
		.amdhsa_exception_fp_ieee_overflow 0
		.amdhsa_exception_fp_ieee_underflow 0
		.amdhsa_exception_fp_ieee_inexact 0
		.amdhsa_exception_int_div_zero 0
	.end_amdhsa_kernel
	.text
.Lfunc_end0:
	.size	fft_rtc_fwd_len1734_factors_17_17_6_wgs_102_tpt_102_halfLds_sp_ip_CI_sbrr_dirReg, .Lfunc_end0-fft_rtc_fwd_len1734_factors_17_17_6_wgs_102_tpt_102_halfLds_sp_ip_CI_sbrr_dirReg
                                        ; -- End function
	.section	.AMDGPU.csdata,"",@progbits
; Kernel info:
; codeLenInByte = 15696
; NumSgprs: 25
; NumVgprs: 100
; ScratchSize: 0
; MemoryBound: 0
; FloatMode: 240
; IeeeMode: 1
; LDSByteSize: 0 bytes/workgroup (compile time only)
; SGPRBlocks: 3
; VGPRBlocks: 12
; NumSGPRsForWavesPerEU: 25
; NumVGPRsForWavesPerEU: 100
; Occupancy: 9
; WaveLimiterHint : 1
; COMPUTE_PGM_RSRC2:SCRATCH_EN: 0
; COMPUTE_PGM_RSRC2:USER_SGPR: 6
; COMPUTE_PGM_RSRC2:TRAP_HANDLER: 0
; COMPUTE_PGM_RSRC2:TGID_X_EN: 1
; COMPUTE_PGM_RSRC2:TGID_Y_EN: 0
; COMPUTE_PGM_RSRC2:TGID_Z_EN: 0
; COMPUTE_PGM_RSRC2:TIDIG_COMP_CNT: 0
	.text
	.p2alignl 6, 3214868480
	.fill 48, 4, 3214868480
	.type	__hip_cuid_1e20652a37fb015e,@object ; @__hip_cuid_1e20652a37fb015e
	.section	.bss,"aw",@nobits
	.globl	__hip_cuid_1e20652a37fb015e
__hip_cuid_1e20652a37fb015e:
	.byte	0                               ; 0x0
	.size	__hip_cuid_1e20652a37fb015e, 1

	.ident	"AMD clang version 19.0.0git (https://github.com/RadeonOpenCompute/llvm-project roc-6.4.0 25133 c7fe45cf4b819c5991fe208aaa96edf142730f1d)"
	.section	".note.GNU-stack","",@progbits
	.addrsig
	.addrsig_sym __hip_cuid_1e20652a37fb015e
	.amdgpu_metadata
---
amdhsa.kernels:
  - .args:
      - .actual_access:  read_only
        .address_space:  global
        .offset:         0
        .size:           8
        .value_kind:     global_buffer
      - .offset:         8
        .size:           8
        .value_kind:     by_value
      - .actual_access:  read_only
        .address_space:  global
        .offset:         16
        .size:           8
        .value_kind:     global_buffer
      - .actual_access:  read_only
        .address_space:  global
        .offset:         24
        .size:           8
        .value_kind:     global_buffer
      - .offset:         32
        .size:           8
        .value_kind:     by_value
      - .actual_access:  read_only
        .address_space:  global
        .offset:         40
        .size:           8
        .value_kind:     global_buffer
      - .actual_access:  read_only
        .address_space:  global
        .offset:         48
        .size:           8
        .value_kind:     global_buffer
      - .offset:         56
        .size:           4
        .value_kind:     by_value
      - .actual_access:  read_only
        .address_space:  global
        .offset:         64
        .size:           8
        .value_kind:     global_buffer
      - .actual_access:  read_only
        .address_space:  global
        .offset:         72
        .size:           8
        .value_kind:     global_buffer
      - .address_space:  global
        .offset:         80
        .size:           8
        .value_kind:     global_buffer
    .group_segment_fixed_size: 0
    .kernarg_segment_align: 8
    .kernarg_segment_size: 88
    .language:       OpenCL C
    .language_version:
      - 2
      - 0
    .max_flat_workgroup_size: 102
    .name:           fft_rtc_fwd_len1734_factors_17_17_6_wgs_102_tpt_102_halfLds_sp_ip_CI_sbrr_dirReg
    .private_segment_fixed_size: 0
    .sgpr_count:     25
    .sgpr_spill_count: 0
    .symbol:         fft_rtc_fwd_len1734_factors_17_17_6_wgs_102_tpt_102_halfLds_sp_ip_CI_sbrr_dirReg.kd
    .uniform_work_group_size: 1
    .uses_dynamic_stack: false
    .vgpr_count:     100
    .vgpr_spill_count: 0
    .wavefront_size: 32
    .workgroup_processor_mode: 1
amdhsa.target:   amdgcn-amd-amdhsa--gfx1030
amdhsa.version:
  - 1
  - 2
...

	.end_amdgpu_metadata
